;; amdgpu-corpus repo=ROCm/rocFFT kind=compiled arch=gfx906 opt=O3
	.text
	.amdgcn_target "amdgcn-amd-amdhsa--gfx906"
	.amdhsa_code_object_version 6
	.protected	fft_rtc_back_len1960_factors_4_7_2_7_5_wgs_56_tpt_56_halfLds_half_ip_CI_sbrr_dirReg ; -- Begin function fft_rtc_back_len1960_factors_4_7_2_7_5_wgs_56_tpt_56_halfLds_half_ip_CI_sbrr_dirReg
	.globl	fft_rtc_back_len1960_factors_4_7_2_7_5_wgs_56_tpt_56_halfLds_half_ip_CI_sbrr_dirReg
	.p2align	8
	.type	fft_rtc_back_len1960_factors_4_7_2_7_5_wgs_56_tpt_56_halfLds_half_ip_CI_sbrr_dirReg,@function
fft_rtc_back_len1960_factors_4_7_2_7_5_wgs_56_tpt_56_halfLds_half_ip_CI_sbrr_dirReg: ; @fft_rtc_back_len1960_factors_4_7_2_7_5_wgs_56_tpt_56_halfLds_half_ip_CI_sbrr_dirReg
; %bb.0:
	s_load_dwordx2 s[2:3], s[4:5], 0x18
	s_load_dwordx4 s[8:11], s[4:5], 0x0
	s_load_dwordx2 s[14:15], s[4:5], 0x50
	v_mul_u32_u24_e32 v1, 0x493, v0
	v_add_u32_sdwa v5, s6, v1 dst_sel:DWORD dst_unused:UNUSED_PAD src0_sel:DWORD src1_sel:WORD_1
	s_waitcnt lgkmcnt(0)
	s_load_dwordx2 s[12:13], s[2:3], 0x0
	v_cmp_lt_u64_e64 s[0:1], s[10:11], 2
	v_mov_b32_e32 v3, 0
	v_mov_b32_e32 v1, 0
	;; [unrolled: 1-line block ×3, first 2 shown]
	s_and_b64 vcc, exec, s[0:1]
	v_mov_b32_e32 v2, 0
	s_cbranch_vccnz .LBB0_8
; %bb.1:
	s_load_dwordx2 s[0:1], s[4:5], 0x10
	s_add_u32 s6, s2, 8
	s_addc_u32 s7, s3, 0
	v_mov_b32_e32 v1, 0
	v_mov_b32_e32 v2, 0
	s_waitcnt lgkmcnt(0)
	s_add_u32 s16, s0, 8
	s_addc_u32 s17, s1, 0
	s_mov_b64 s[18:19], 1
.LBB0_2:                                ; =>This Inner Loop Header: Depth=1
	s_load_dwordx2 s[20:21], s[16:17], 0x0
                                        ; implicit-def: $vgpr7_vgpr8
	s_waitcnt lgkmcnt(0)
	v_or_b32_e32 v4, s21, v6
	v_cmp_ne_u64_e32 vcc, 0, v[3:4]
	s_and_saveexec_b64 s[0:1], vcc
	s_xor_b64 s[22:23], exec, s[0:1]
	s_cbranch_execz .LBB0_4
; %bb.3:                                ;   in Loop: Header=BB0_2 Depth=1
	v_cvt_f32_u32_e32 v4, s20
	v_cvt_f32_u32_e32 v7, s21
	s_sub_u32 s0, 0, s20
	s_subb_u32 s1, 0, s21
	v_mac_f32_e32 v4, 0x4f800000, v7
	v_rcp_f32_e32 v4, v4
	v_mul_f32_e32 v4, 0x5f7ffffc, v4
	v_mul_f32_e32 v7, 0x2f800000, v4
	v_trunc_f32_e32 v7, v7
	v_mac_f32_e32 v4, 0xcf800000, v7
	v_cvt_u32_f32_e32 v7, v7
	v_cvt_u32_f32_e32 v4, v4
	v_mul_lo_u32 v8, s0, v7
	v_mul_hi_u32 v9, s0, v4
	v_mul_lo_u32 v11, s1, v4
	v_mul_lo_u32 v10, s0, v4
	v_add_u32_e32 v8, v9, v8
	v_add_u32_e32 v8, v8, v11
	v_mul_hi_u32 v9, v4, v10
	v_mul_lo_u32 v11, v4, v8
	v_mul_hi_u32 v13, v4, v8
	v_mul_hi_u32 v12, v7, v10
	v_mul_lo_u32 v10, v7, v10
	v_mul_hi_u32 v14, v7, v8
	v_add_co_u32_e32 v9, vcc, v9, v11
	v_addc_co_u32_e32 v11, vcc, 0, v13, vcc
	v_mul_lo_u32 v8, v7, v8
	v_add_co_u32_e32 v9, vcc, v9, v10
	v_addc_co_u32_e32 v9, vcc, v11, v12, vcc
	v_addc_co_u32_e32 v10, vcc, 0, v14, vcc
	v_add_co_u32_e32 v8, vcc, v9, v8
	v_addc_co_u32_e32 v9, vcc, 0, v10, vcc
	v_add_co_u32_e32 v4, vcc, v4, v8
	v_addc_co_u32_e32 v7, vcc, v7, v9, vcc
	v_mul_lo_u32 v8, s0, v7
	v_mul_hi_u32 v9, s0, v4
	v_mul_lo_u32 v10, s1, v4
	v_mul_lo_u32 v11, s0, v4
	v_add_u32_e32 v8, v9, v8
	v_add_u32_e32 v8, v8, v10
	v_mul_lo_u32 v12, v4, v8
	v_mul_hi_u32 v13, v4, v11
	v_mul_hi_u32 v14, v4, v8
	;; [unrolled: 1-line block ×3, first 2 shown]
	v_mul_lo_u32 v11, v7, v11
	v_mul_hi_u32 v9, v7, v8
	v_add_co_u32_e32 v12, vcc, v13, v12
	v_addc_co_u32_e32 v13, vcc, 0, v14, vcc
	v_mul_lo_u32 v8, v7, v8
	v_add_co_u32_e32 v11, vcc, v12, v11
	v_addc_co_u32_e32 v10, vcc, v13, v10, vcc
	v_addc_co_u32_e32 v9, vcc, 0, v9, vcc
	v_add_co_u32_e32 v8, vcc, v10, v8
	v_addc_co_u32_e32 v9, vcc, 0, v9, vcc
	v_add_co_u32_e32 v4, vcc, v4, v8
	v_addc_co_u32_e32 v9, vcc, v7, v9, vcc
	v_mad_u64_u32 v[7:8], s[0:1], v5, v9, 0
	v_mul_hi_u32 v10, v5, v4
	v_add_co_u32_e32 v11, vcc, v10, v7
	v_addc_co_u32_e32 v12, vcc, 0, v8, vcc
	v_mad_u64_u32 v[7:8], s[0:1], v6, v4, 0
	v_mad_u64_u32 v[9:10], s[0:1], v6, v9, 0
	v_add_co_u32_e32 v4, vcc, v11, v7
	v_addc_co_u32_e32 v4, vcc, v12, v8, vcc
	v_addc_co_u32_e32 v7, vcc, 0, v10, vcc
	v_add_co_u32_e32 v4, vcc, v4, v9
	v_addc_co_u32_e32 v9, vcc, 0, v7, vcc
	v_mul_lo_u32 v10, s21, v4
	v_mul_lo_u32 v11, s20, v9
	v_mad_u64_u32 v[7:8], s[0:1], s20, v4, 0
	v_add3_u32 v8, v8, v11, v10
	v_sub_u32_e32 v10, v6, v8
	v_mov_b32_e32 v11, s21
	v_sub_co_u32_e32 v7, vcc, v5, v7
	v_subb_co_u32_e64 v10, s[0:1], v10, v11, vcc
	v_subrev_co_u32_e64 v11, s[0:1], s20, v7
	v_subbrev_co_u32_e64 v10, s[0:1], 0, v10, s[0:1]
	v_cmp_le_u32_e64 s[0:1], s21, v10
	v_cndmask_b32_e64 v12, 0, -1, s[0:1]
	v_cmp_le_u32_e64 s[0:1], s20, v11
	v_cndmask_b32_e64 v11, 0, -1, s[0:1]
	v_cmp_eq_u32_e64 s[0:1], s21, v10
	v_cndmask_b32_e64 v10, v12, v11, s[0:1]
	v_add_co_u32_e64 v11, s[0:1], 2, v4
	v_addc_co_u32_e64 v12, s[0:1], 0, v9, s[0:1]
	v_add_co_u32_e64 v13, s[0:1], 1, v4
	v_addc_co_u32_e64 v14, s[0:1], 0, v9, s[0:1]
	v_subb_co_u32_e32 v8, vcc, v6, v8, vcc
	v_cmp_ne_u32_e64 s[0:1], 0, v10
	v_cmp_le_u32_e32 vcc, s21, v8
	v_cndmask_b32_e64 v10, v14, v12, s[0:1]
	v_cndmask_b32_e64 v12, 0, -1, vcc
	v_cmp_le_u32_e32 vcc, s20, v7
	v_cndmask_b32_e64 v7, 0, -1, vcc
	v_cmp_eq_u32_e32 vcc, s21, v8
	v_cndmask_b32_e32 v7, v12, v7, vcc
	v_cmp_ne_u32_e32 vcc, 0, v7
	v_cndmask_b32_e64 v7, v13, v11, s[0:1]
	v_cndmask_b32_e32 v8, v9, v10, vcc
	v_cndmask_b32_e32 v7, v4, v7, vcc
.LBB0_4:                                ;   in Loop: Header=BB0_2 Depth=1
	s_andn2_saveexec_b64 s[0:1], s[22:23]
	s_cbranch_execz .LBB0_6
; %bb.5:                                ;   in Loop: Header=BB0_2 Depth=1
	v_cvt_f32_u32_e32 v4, s20
	s_sub_i32 s22, 0, s20
	v_rcp_iflag_f32_e32 v4, v4
	v_mul_f32_e32 v4, 0x4f7ffffe, v4
	v_cvt_u32_f32_e32 v4, v4
	v_mul_lo_u32 v7, s22, v4
	v_mul_hi_u32 v7, v4, v7
	v_add_u32_e32 v4, v4, v7
	v_mul_hi_u32 v4, v5, v4
	v_mul_lo_u32 v7, v4, s20
	v_add_u32_e32 v8, 1, v4
	v_sub_u32_e32 v7, v5, v7
	v_subrev_u32_e32 v9, s20, v7
	v_cmp_le_u32_e32 vcc, s20, v7
	v_cndmask_b32_e32 v7, v7, v9, vcc
	v_cndmask_b32_e32 v4, v4, v8, vcc
	v_add_u32_e32 v8, 1, v4
	v_cmp_le_u32_e32 vcc, s20, v7
	v_cndmask_b32_e32 v7, v4, v8, vcc
	v_mov_b32_e32 v8, v3
.LBB0_6:                                ;   in Loop: Header=BB0_2 Depth=1
	s_or_b64 exec, exec, s[0:1]
	v_mul_lo_u32 v4, v8, s20
	v_mul_lo_u32 v11, v7, s21
	v_mad_u64_u32 v[9:10], s[0:1], v7, s20, 0
	s_load_dwordx2 s[0:1], s[6:7], 0x0
	s_add_u32 s18, s18, 1
	v_add3_u32 v4, v10, v11, v4
	v_sub_co_u32_e32 v5, vcc, v5, v9
	v_subb_co_u32_e32 v4, vcc, v6, v4, vcc
	s_waitcnt lgkmcnt(0)
	v_mul_lo_u32 v4, s0, v4
	v_mul_lo_u32 v6, s1, v5
	v_mad_u64_u32 v[1:2], s[0:1], s0, v5, v[1:2]
	s_addc_u32 s19, s19, 0
	s_add_u32 s6, s6, 8
	v_add3_u32 v2, v6, v2, v4
	v_mov_b32_e32 v4, s10
	v_mov_b32_e32 v5, s11
	s_addc_u32 s7, s7, 0
	v_cmp_ge_u64_e32 vcc, s[18:19], v[4:5]
	s_add_u32 s16, s16, 8
	s_addc_u32 s17, s17, 0
	s_cbranch_vccnz .LBB0_9
; %bb.7:                                ;   in Loop: Header=BB0_2 Depth=1
	v_mov_b32_e32 v5, v7
	v_mov_b32_e32 v6, v8
	s_branch .LBB0_2
.LBB0_8:
	v_mov_b32_e32 v8, v6
	v_mov_b32_e32 v7, v5
.LBB0_9:
	s_lshl_b64 s[0:1], s[10:11], 3
	s_add_u32 s0, s2, s0
	s_addc_u32 s1, s3, s1
	s_load_dwordx2 s[2:3], s[0:1], 0x0
	s_load_dwordx2 s[6:7], s[4:5], 0x20
                                        ; implicit-def: $sgpr4
                                        ; implicit-def: $vgpr9
                                        ; implicit-def: $vgpr10
                                        ; implicit-def: $vgpr11
                                        ; implicit-def: $vgpr12
                                        ; implicit-def: $vgpr6
	s_waitcnt lgkmcnt(0)
	v_mad_u64_u32 v[1:2], s[0:1], s2, v7, v[1:2]
	s_mov_b32 s0, 0x4924925
	v_mul_lo_u32 v3, s2, v8
	v_mul_lo_u32 v4, s3, v7
	v_mul_hi_u32 v5, v0, s0
	v_cmp_gt_u64_e32 vcc, s[6:7], v[7:8]
	v_cmp_le_u64_e64 s[0:1], s[6:7], v[7:8]
	v_add3_u32 v2, v4, v2, v3
	v_mul_u32_u24_e32 v3, 56, v5
	v_sub_u32_e32 v14, v0, v3
	v_add_u32_e32 v15, 56, v14
                                        ; implicit-def: $vgpr8
                                        ; implicit-def: $vgpr0
                                        ; implicit-def: $vgpr3
	s_and_saveexec_b64 s[2:3], s[0:1]
	s_xor_b64 s[0:1], exec, s[2:3]
; %bb.10:
	v_add_u32_e32 v8, 56, v14
	v_add_u32_e32 v9, 0x70, v14
	;; [unrolled: 1-line block ×7, first 2 shown]
	v_or_b32_e32 v6, 0x1c0, v14
	s_mov_b32 s4, 0
; %bb.11:
	s_or_saveexec_b64 s[2:3], s[0:1]
	v_lshlrev_b64 v[4:5], 2, v[1:2]
	v_mov_b32_e32 v28, s4
	v_mov_b32_e32 v59, s4
	;; [unrolled: 1-line block ×4, first 2 shown]
                                        ; implicit-def: $vgpr29
                                        ; implicit-def: $vgpr1
                                        ; implicit-def: $vgpr39
                                        ; implicit-def: $vgpr2
                                        ; implicit-def: $vgpr40
                                        ; implicit-def: $vgpr16
                                        ; implicit-def: $vgpr74
                                        ; implicit-def: $vgpr17
                                        ; implicit-def: $vgpr41
                                        ; implicit-def: $vgpr7
                                        ; implicit-def: $vgpr42
                                        ; implicit-def: $vgpr13
                                        ; implicit-def: $vgpr43
                                        ; implicit-def: $vgpr18
                                        ; implicit-def: $vgpr76
                                        ; implicit-def: $vgpr19
                                        ; implicit-def: $vgpr44
                                        ; implicit-def: $vgpr20
                                        ; implicit-def: $vgpr54
                                        ; implicit-def: $vgpr21
                                        ; implicit-def: $vgpr55
                                        ; implicit-def: $vgpr24
                                        ; implicit-def: $vgpr78
                                        ; implicit-def: $vgpr25
                                        ; implicit-def: $vgpr56
                                        ; implicit-def: $vgpr22
                                        ; implicit-def: $vgpr58
                                        ; implicit-def: $vgpr23
                                        ; implicit-def: $vgpr60
                                        ; implicit-def: $vgpr26
                                        ; implicit-def: $vgpr79
                                        ; implicit-def: $vgpr27
                                        ; implicit-def: $vgpr61
                                        ; implicit-def: $vgpr30
                                        ; implicit-def: $vgpr62
                                        ; implicit-def: $vgpr31
                                        ; implicit-def: $vgpr63
                                        ; implicit-def: $vgpr34
                                        ; implicit-def: $vgpr80
                                        ; implicit-def: $vgpr35
                                        ; implicit-def: $vgpr64
                                        ; implicit-def: $vgpr32
                                        ; implicit-def: $vgpr65
                                        ; implicit-def: $vgpr33
                                        ; implicit-def: $vgpr66
                                        ; implicit-def: $vgpr36
                                        ; implicit-def: $vgpr81
                                        ; implicit-def: $vgpr37
                                        ; implicit-def: $vgpr67
                                        ; implicit-def: $vgpr46
                                        ; implicit-def: $vgpr68
                                        ; implicit-def: $vgpr47
                                        ; implicit-def: $vgpr69
                                        ; implicit-def: $vgpr50
                                        ; implicit-def: $vgpr82
                                        ; implicit-def: $vgpr51
                                        ; implicit-def: $vgpr70
                                        ; implicit-def: $vgpr48
                                        ; implicit-def: $vgpr71
                                        ; implicit-def: $vgpr49
                                        ; implicit-def: $vgpr72
                                        ; implicit-def: $vgpr52
                                        ; implicit-def: $vgpr83
                                        ; implicit-def: $vgpr53
                                        ; implicit-def: $vgpr45
                                        ; implicit-def: $vgpr73
                                        ; implicit-def: $vgpr77
                                        ; implicit-def: $vgpr75
	s_xor_b64 exec, exec, s[2:3]
	s_cbranch_execz .LBB0_15
; %bb.12:
	v_mad_u64_u32 v[0:1], s[0:1], s12, v14, 0
	v_add_u32_e32 v7, 0x1ea, v14
	v_mov_b32_e32 v6, s15
	v_mad_u64_u32 v[1:2], s[0:1], s13, v14, v[1:2]
	v_mad_u64_u32 v[2:3], s[0:1], s12, v7, 0
	v_add_co_u32_e64 v8, s[0:1], s14, v4
	v_addc_co_u32_e64 v29, s[0:1], v6, v5, s[0:1]
	v_mad_u64_u32 v[6:7], s[0:1], s13, v7, v[3:4]
	v_add_u32_e32 v7, 0x3d4, v14
	v_mad_u64_u32 v[9:10], s[0:1], s12, v7, 0
	v_lshlrev_b64 v[0:1], 2, v[0:1]
	v_mov_b32_e32 v3, v6
	v_add_co_u32_e64 v11, s[0:1], v8, v0
	v_addc_co_u32_e64 v12, s[0:1], v29, v1, s[0:1]
	v_lshlrev_b64 v[0:1], 2, v[2:3]
	v_mov_b32_e32 v2, v10
	v_mad_u64_u32 v[2:3], s[0:1], s13, v7, v[2:3]
	v_add_u32_e32 v3, 0x5be, v14
	v_mad_u64_u32 v[6:7], s[0:1], s12, v3, 0
	v_add_co_u32_e64 v20, s[0:1], v8, v0
	v_mov_b32_e32 v10, v2
	v_mov_b32_e32 v2, v7
	v_addc_co_u32_e64 v21, s[0:1], v29, v1, s[0:1]
	v_lshlrev_b64 v[0:1], 2, v[9:10]
	v_mad_u64_u32 v[2:3], s[0:1], s13, v3, v[2:3]
	v_mad_u64_u32 v[9:10], s[0:1], s12, v15, 0
	v_add_co_u32_e64 v22, s[0:1], v8, v0
	v_mov_b32_e32 v7, v2
	v_mov_b32_e32 v2, v10
	v_addc_co_u32_e64 v23, s[0:1], v29, v1, s[0:1]
	v_mad_u64_u32 v[2:3], s[0:1], s13, v15, v[2:3]
	v_add_u32_e32 v3, 0x222, v14
	v_lshlrev_b64 v[0:1], 2, v[6:7]
	v_mad_u64_u32 v[6:7], s[0:1], s12, v3, 0
	v_add_co_u32_e64 v24, s[0:1], v8, v0
	v_mov_b32_e32 v10, v2
	v_mov_b32_e32 v2, v7
	v_addc_co_u32_e64 v25, s[0:1], v29, v1, s[0:1]
	v_mad_u64_u32 v[2:3], s[0:1], s13, v3, v[2:3]
	v_add_u32_e32 v3, 0x40c, v14
	v_lshlrev_b64 v[0:1], 2, v[9:10]
	;; [unrolled: 8-line block ×3, first 2 shown]
	v_mad_u64_u32 v[6:7], s[0:1], s12, v3, 0
	v_add_co_u32_e64 v30, s[0:1], v8, v0
	v_mov_b32_e32 v10, v2
	v_mov_b32_e32 v2, v7
	v_addc_co_u32_e64 v31, s[0:1], v29, v1, s[0:1]
	v_lshlrev_b64 v[0:1], 2, v[9:10]
	v_mad_u64_u32 v[2:3], s[0:1], s13, v3, v[2:3]
	v_add_co_u32_e64 v32, s[0:1], v8, v0
	v_add_u32_e32 v9, 0x70, v14
	v_addc_co_u32_e64 v33, s[0:1], v29, v1, s[0:1]
	v_mad_u64_u32 v[34:35], s[0:1], s12, v9, 0
	v_mov_b32_e32 v7, v2
	v_lshlrev_b64 v[0:1], 2, v[6:7]
	v_add_u32_e32 v3, 0x25a, v14
	v_add_co_u32_e64 v36, s[0:1], v8, v0
	v_mov_b32_e32 v0, v35
	v_addc_co_u32_e64 v37, s[0:1], v29, v1, s[0:1]
	v_mad_u64_u32 v[0:1], s[0:1], s13, v9, v[0:1]
	global_load_dword v1, v[11:12], off
	global_load_dword v2, v[20:21], off
	;; [unrolled: 1-line block ×8, first 2 shown]
	v_mad_u64_u32 v[38:39], s[0:1], s12, v3, 0
	v_mov_b32_e32 v35, v0
	v_lshlrev_b64 v[10:11], 2, v[34:35]
	v_mov_b32_e32 v0, v39
	v_add_u32_e32 v6, 0x33a, v14
	v_add_u32_e32 v28, 0x372, v14
                                        ; implicit-def: $vgpr75
                                        ; implicit-def: $vgpr77
                                        ; implicit-def: $vgpr73
	s_waitcnt vmcnt(7)
	v_mad_u64_u32 v[20:21], s[0:1], s13, v3, v[0:1]
	v_add_u32_e32 v3, 0x444, v14
	v_mad_u64_u32 v[21:22], s[0:1], s12, v3, 0
	v_add_co_u32_e64 v30, s[0:1], v8, v10
	v_mov_b32_e32 v0, v22
	v_addc_co_u32_e64 v31, s[0:1], v29, v11, s[0:1]
	v_mad_u64_u32 v[22:23], s[0:1], s13, v3, v[0:1]
	v_add_u32_e32 v3, 0x62e, v14
	v_mad_u64_u32 v[23:24], s[0:1], s12, v3, 0
	v_mov_b32_e32 v39, v20
	v_lshlrev_b64 v[10:11], 2, v[38:39]
	v_mov_b32_e32 v0, v24
	v_add_co_u32_e64 v32, s[0:1], v8, v10
	v_addc_co_u32_e64 v33, s[0:1], v29, v11, s[0:1]
	v_lshlrev_b64 v[11:12], 2, v[21:22]
	v_mad_u64_u32 v[20:21], s[0:1], s13, v3, v[0:1]
	v_add_u32_e32 v10, 0xa8, v14
	v_mad_u64_u32 v[21:22], s[0:1], s12, v10, 0
	v_add_co_u32_e64 v34, s[0:1], v8, v11
	v_mov_b32_e32 v24, v20
	v_mov_b32_e32 v0, v22
	v_addc_co_u32_e64 v35, s[0:1], v29, v12, s[0:1]
	v_lshlrev_b64 v[11:12], 2, v[23:24]
	v_mad_u64_u32 v[22:23], s[0:1], s13, v10, v[0:1]
	v_add_u32_e32 v3, 0x292, v14
	v_mad_u64_u32 v[23:24], s[0:1], s12, v3, 0
	v_add_co_u32_e64 v36, s[0:1], v8, v11
	v_mov_b32_e32 v0, v24
	v_addc_co_u32_e64 v37, s[0:1], v29, v12, s[0:1]
	v_lshlrev_b64 v[11:12], 2, v[21:22]
	v_mad_u64_u32 v[20:21], s[0:1], s13, v3, v[0:1]
	v_add_u32_e32 v3, 0x47c, v14
	v_mad_u64_u32 v[21:22], s[0:1], s12, v3, 0
	v_add_co_u32_e64 v38, s[0:1], v8, v11
	v_mov_b32_e32 v24, v20
	v_mov_b32_e32 v0, v22
	v_addc_co_u32_e64 v39, s[0:1], v29, v12, s[0:1]
	v_lshlrev_b64 v[11:12], 2, v[23:24]
	v_mad_u64_u32 v[22:23], s[0:1], s13, v3, v[0:1]
	v_add_u32_e32 v3, 0x666, v14
	v_mad_u64_u32 v[23:24], s[0:1], s12, v3, 0
	v_add_co_u32_e64 v40, s[0:1], v8, v11
	v_mov_b32_e32 v0, v24
	v_addc_co_u32_e64 v41, s[0:1], v29, v12, s[0:1]
	v_lshlrev_b64 v[11:12], 2, v[21:22]
	v_mad_u64_u32 v[20:21], s[0:1], s13, v3, v[0:1]
	v_add_co_u32_e64 v42, s[0:1], v8, v11
	v_add_u32_e32 v11, 0xe0, v14
	v_addc_co_u32_e64 v43, s[0:1], v29, v12, s[0:1]
	v_mad_u64_u32 v[44:45], s[0:1], s12, v11, 0
	v_mov_b32_e32 v24, v20
	v_lshlrev_b64 v[20:21], 2, v[23:24]
	v_mov_b32_e32 v0, v45
	v_add_co_u32_e64 v46, s[0:1], v8, v20
	v_addc_co_u32_e64 v47, s[0:1], v29, v21, s[0:1]
	v_mad_u64_u32 v[48:49], s[0:1], s13, v11, v[0:1]
	v_add_u32_e32 v3, 0x2ca, v14
	v_mad_u64_u32 v[49:50], s[0:1], s12, v3, 0
	global_load_dword v20, v[30:31], off
	global_load_dword v21, v[32:33], off
	;; [unrolled: 1-line block ×8, first 2 shown]
	v_mov_b32_e32 v45, v48
	v_mov_b32_e32 v0, v50
	v_mad_u64_u32 v[32:33], s[0:1], s13, v3, v[0:1]
	v_add_u32_e32 v3, 0x4b4, v14
	v_mad_u64_u32 v[33:34], s[0:1], s12, v3, 0
	v_lshlrev_b64 v[30:31], 2, v[44:45]
	v_mov_b32_e32 v50, v32
	v_add_co_u32_e64 v38, s[0:1], v8, v30
	v_mov_b32_e32 v0, v34
	v_addc_co_u32_e64 v39, s[0:1], v29, v31, s[0:1]
	v_mad_u64_u32 v[34:35], s[0:1], s13, v3, v[0:1]
	v_add_u32_e32 v3, 0x69e, v14
	v_mad_u64_u32 v[35:36], s[0:1], s12, v3, 0
	v_lshlrev_b64 v[30:31], 2, v[49:50]
	v_add_u32_e32 v12, 0x118, v14
	v_add_co_u32_e64 v40, s[0:1], v8, v30
	v_mov_b32_e32 v0, v36
	v_addc_co_u32_e64 v41, s[0:1], v29, v31, s[0:1]
	v_lshlrev_b64 v[30:31], 2, v[33:34]
	v_mad_u64_u32 v[32:33], s[0:1], s13, v3, v[0:1]
	v_mad_u64_u32 v[33:34], s[0:1], s12, v12, 0
	v_add_co_u32_e64 v42, s[0:1], v8, v30
	v_mov_b32_e32 v36, v32
	v_mov_b32_e32 v0, v34
	v_addc_co_u32_e64 v43, s[0:1], v29, v31, s[0:1]
	v_lshlrev_b64 v[30:31], 2, v[35:36]
	v_mad_u64_u32 v[34:35], s[0:1], s13, v12, v[0:1]
	v_add_u32_e32 v3, 0x302, v14
	v_mad_u64_u32 v[35:36], s[0:1], s12, v3, 0
	v_add_co_u32_e64 v44, s[0:1], v8, v30
	v_mov_b32_e32 v0, v36
	v_addc_co_u32_e64 v45, s[0:1], v29, v31, s[0:1]
	v_lshlrev_b64 v[30:31], 2, v[33:34]
	v_mad_u64_u32 v[32:33], s[0:1], s13, v3, v[0:1]
	v_add_u32_e32 v3, 0x4ec, v14
	v_mad_u64_u32 v[33:34], s[0:1], s12, v3, 0
	v_add_co_u32_e64 v46, s[0:1], v8, v30
	v_mov_b32_e32 v36, v32
	v_mov_b32_e32 v0, v34
	v_addc_co_u32_e64 v47, s[0:1], v29, v31, s[0:1]
	v_lshlrev_b64 v[30:31], 2, v[35:36]
	v_mad_u64_u32 v[34:35], s[0:1], s13, v3, v[0:1]
	v_add_u32_e32 v3, 0x6d6, v14
	v_mad_u64_u32 v[35:36], s[0:1], s12, v3, 0
	v_add_co_u32_e64 v48, s[0:1], v8, v30
	v_mov_b32_e32 v0, v36
	v_addc_co_u32_e64 v49, s[0:1], v29, v31, s[0:1]
	v_lshlrev_b64 v[30:31], 2, v[33:34]
	v_mad_u64_u32 v[32:33], s[0:1], s13, v3, v[0:1]
	v_add_co_u32_e64 v50, s[0:1], v8, v30
	v_add_u32_e32 v0, 0x150, v14
	v_addc_co_u32_e64 v51, s[0:1], v29, v31, s[0:1]
	v_mad_u64_u32 v[52:53], s[0:1], s12, v0, 0
	v_mov_b32_e32 v36, v32
	v_lshlrev_b64 v[30:31], 2, v[35:36]
	v_mov_b32_e32 v3, v53
	v_add_co_u32_e64 v54, s[0:1], v8, v30
	v_addc_co_u32_e64 v55, s[0:1], v29, v31, s[0:1]
	v_mad_u64_u32 v[56:57], s[0:1], s13, v0, v[3:4]
	v_mad_u64_u32 v[57:58], s[0:1], s12, v6, 0
	global_load_dword v30, v[38:39], off
	global_load_dword v31, v[40:41], off
	;; [unrolled: 1-line block ×8, first 2 shown]
	v_mov_b32_e32 v53, v56
	v_mov_b32_e32 v3, v58
	v_mad_u64_u32 v[40:41], s[0:1], s13, v6, v[3:4]
	v_add_u32_e32 v6, 0x524, v14
	v_mad_u64_u32 v[41:42], s[0:1], s12, v6, 0
	v_lshlrev_b64 v[38:39], 2, v[52:53]
	v_mov_b32_e32 v58, v40
	v_add_co_u32_e64 v38, s[0:1], v8, v38
	v_mov_b32_e32 v3, v42
	v_addc_co_u32_e64 v39, s[0:1], v29, v39, s[0:1]
	v_mad_u64_u32 v[45:46], s[0:1], s13, v6, v[3:4]
	v_add_u32_e32 v6, 0x70e, v14
	v_mad_u64_u32 v[46:47], s[0:1], s12, v6, 0
	v_lshlrev_b64 v[43:44], 2, v[57:58]
	v_mov_b32_e32 v42, v45
	v_add_co_u32_e64 v43, s[0:1], v8, v43
	v_mov_b32_e32 v3, v47
	v_addc_co_u32_e64 v44, s[0:1], v29, v44, s[0:1]
	v_mad_u64_u32 v[47:48], s[0:1], s13, v6, v[3:4]
	v_add_u32_e32 v3, 0x188, v14
	v_mad_u64_u32 v[48:49], s[0:1], s12, v3, 0
	v_lshlrev_b64 v[40:41], 2, v[41:42]
	v_lshlrev_b64 v[45:46], 2, v[46:47]
	v_add_co_u32_e64 v40, s[0:1], v8, v40
	v_mov_b32_e32 v6, v49
	v_addc_co_u32_e64 v41, s[0:1], v29, v41, s[0:1]
	s_waitcnt vmcnt(19)
	v_mad_u64_u32 v[49:50], s[0:1], s13, v3, v[6:7]
	v_mad_u64_u32 v[50:51], s[0:1], s12, v28, 0
	v_add_co_u32_e64 v54, s[0:1], v8, v45
	v_mov_b32_e32 v6, v51
	v_addc_co_u32_e64 v55, s[0:1], v29, v46, s[0:1]
	v_lshlrev_b64 v[45:46], 2, v[48:49]
	v_mad_u64_u32 v[47:48], s[0:1], s13, v28, v[6:7]
	v_add_u32_e32 v28, 0x55c, v14
	v_mad_u64_u32 v[48:49], s[0:1], s12, v28, 0
	v_add_co_u32_e64 v56, s[0:1], v8, v45
	v_mov_b32_e32 v51, v47
	v_mov_b32_e32 v6, v49
	v_addc_co_u32_e64 v57, s[0:1], v29, v46, s[0:1]
	v_lshlrev_b64 v[45:46], 2, v[50:51]
	v_mad_u64_u32 v[49:50], s[0:1], s13, v28, v[6:7]
	v_add_u32_e32 v28, 0x746, v14
	v_mad_u64_u32 v[50:51], s[0:1], s12, v28, 0
	v_add_co_u32_e64 v58, s[0:1], v8, v45
	v_mov_b32_e32 v6, v51
	v_addc_co_u32_e64 v59, s[0:1], v29, v46, s[0:1]
	v_lshlrev_b64 v[45:46], 2, v[48:49]
	v_mad_u64_u32 v[47:48], s[0:1], s13, v28, v[6:7]
	v_add_co_u32_e64 v60, s[0:1], v8, v45
	v_mov_b32_e32 v51, v47
	v_addc_co_u32_e64 v61, s[0:1], v29, v46, s[0:1]
	v_lshlrev_b64 v[45:46], 2, v[50:51]
	v_or_b32_e32 v6, 0x1c0, v14
	v_add_co_u32_e64 v62, s[0:1], v8, v45
	v_addc_co_u32_e64 v63, s[0:1], v29, v46, s[0:1]
	global_load_dword v46, v[38:39], off
	global_load_dword v47, v[43:44], off
	;; [unrolled: 1-line block ×8, first 2 shown]
	s_movk_i32 s0, 0x1ea
	v_cmp_gt_u32_e64 s[0:1], s0, v6
	v_mov_b32_e32 v57, 0
	v_mov_b32_e32 v38, 0
	v_mov_b32_e32 v59, 0
	v_mov_b32_e32 v28, 0
                                        ; implicit-def: $vgpr45
	s_and_saveexec_b64 s[4:5], s[0:1]
	s_cbranch_execz .LBB0_14
; %bb.13:
	v_mad_u64_u32 v[38:39], s[0:1], s12, v6, 0
	v_add_u32_e32 v44, 0x3aa, v14
	v_mad_u64_u32 v[40:41], s[0:1], s12, v44, 0
	v_mov_b32_e32 v28, v39
	v_mad_u64_u32 v[42:43], s[0:1], s13, v6, v[28:29]
	v_mov_b32_e32 v28, v41
	v_add_u32_e32 v54, 0x77e, v14
	v_mov_b32_e32 v39, v42
	v_mad_u64_u32 v[41:42], s[0:1], s13, v44, v[28:29]
	v_add_u32_e32 v44, 0x594, v14
	v_mad_u64_u32 v[42:43], s[0:1], s12, v44, 0
	v_lshlrev_b64 v[38:39], 2, v[38:39]
	v_lshlrev_b64 v[40:41], 2, v[40:41]
	v_add_co_u32_e64 v38, s[0:1], v8, v38
	v_mov_b32_e32 v28, v43
	v_addc_co_u32_e64 v39, s[0:1], v29, v39, s[0:1]
	v_mad_u64_u32 v[43:44], s[0:1], s13, v44, v[28:29]
	v_mad_u64_u32 v[44:45], s[0:1], s12, v54, 0
	v_add_co_u32_e64 v40, s[0:1], v8, v40
	v_mov_b32_e32 v28, v45
	v_addc_co_u32_e64 v41, s[0:1], v29, v41, s[0:1]
	v_mad_u64_u32 v[54:55], s[0:1], s13, v54, v[28:29]
	v_lshlrev_b64 v[42:43], 2, v[42:43]
	v_mov_b32_e32 v45, v54
	v_add_co_u32_e64 v42, s[0:1], v8, v42
	v_lshlrev_b64 v[44:45], 2, v[44:45]
	v_addc_co_u32_e64 v43, s[0:1], v29, v43, s[0:1]
	v_add_co_u32_e64 v28, s[0:1], v8, v44
	v_addc_co_u32_e64 v29, s[0:1], v29, v45, s[0:1]
	global_load_dword v59, v[38:39], off
	global_load_dword v57, v[40:41], off
	;; [unrolled: 1-line block ×4, first 2 shown]
	s_waitcnt vmcnt(3)
	v_lshrrev_b32_e32 v28, 16, v59
	s_waitcnt vmcnt(2)
	v_lshrrev_b32_e32 v38, 16, v57
	;; [unrolled: 2-line block ×4, first 2 shown]
.LBB0_14:
	s_or_b64 exec, exec, s[4:5]
	v_lshrrev_b32_e32 v29, 16, v1
	v_lshrrev_b32_e32 v39, 16, v2
	;; [unrolled: 1-line block ×5, first 2 shown]
	s_waitcnt vmcnt(26)
	v_lshrrev_b32_e32 v42, 16, v13
	s_waitcnt vmcnt(25)
	v_lshrrev_b32_e32 v43, 16, v18
	;; [unrolled: 2-line block ×27, first 2 shown]
	v_mov_b32_e32 v8, v15
.LBB0_15:
	s_or_b64 exec, exec, s[2:3]
	v_sub_f16_e32 v84, v1, v16
	v_fma_f16 v85, v1, 2.0, -v84
	v_sub_f16_e32 v1, v2, v17
	v_fma_f16 v2, v2, 2.0, -v1
	v_sub_f16_e32 v17, v85, v2
	v_sub_f16_e32 v2, v7, v18
	v_fma_f16 v86, v7, 2.0, -v2
	v_sub_f16_e32 v7, v13, v19
	v_sub_f16_e32 v18, v42, v76
	v_fma_f16 v13, v13, 2.0, -v7
	v_add_f16_e32 v87, v2, v18
	v_sub_f16_e32 v76, v86, v13
	v_fma_f16 v88, v2, 2.0, -v87
	v_sub_f16_e32 v2, v20, v24
	v_sub_f16_e32 v13, v21, v25
	v_fma_f16 v19, v20, 2.0, -v2
	v_sub_f16_e32 v20, v54, v78
	v_fma_f16 v21, v21, 2.0, -v13
	v_sub_f16_e32 v78, v19, v21
	v_add_f16_e32 v90, v2, v20
	v_fma_f16 v89, v19, 2.0, -v78
	v_fma_f16 v91, v2, 2.0, -v90
	v_sub_f16_e32 v2, v22, v26
	v_sub_f16_e32 v19, v23, v27
	;; [unrolled: 1-line block ×3, first 2 shown]
	v_fma_f16 v21, v22, 2.0, -v2
	v_fma_f16 v22, v23, 2.0, -v19
	v_add_f16_e32 v92, v2, v26
	v_sub_f16_e32 v22, v21, v22
	v_fma_f16 v93, v2, 2.0, -v92
	v_sub_f16_e32 v2, v30, v34
	v_fma_f16 v79, v21, 2.0, -v22
	v_fma_f16 v21, v30, 2.0, -v2
	v_sub_f16_e32 v25, v31, v35
	v_sub_f16_e32 v30, v62, v80
	v_fma_f16 v23, v31, 2.0, -v25
	v_add_f16_e32 v95, v2, v30
	v_sub_f16_e32 v80, v21, v23
	v_fma_f16 v96, v2, 2.0, -v95
	v_sub_f16_e32 v2, v32, v36
	v_fma_f16 v94, v21, 2.0, -v80
	v_fma_f16 v21, v32, 2.0, -v2
	v_sub_f16_e32 v27, v33, v37
	v_sub_f16_e32 v32, v65, v81
	v_fma_f16 v23, v33, 2.0, -v27
	v_add_f16_e32 v98, v2, v32
	v_sub_f16_e32 v81, v21, v23
	v_fma_f16 v99, v2, 2.0, -v98
	v_sub_f16_e32 v2, v46, v50
	v_sub_f16_e32 v31, v47, v51
	;; [unrolled: 1-line block ×4, first 2 shown]
	v_fma_f16 v97, v21, 2.0, -v81
	v_fma_f16 v21, v46, 2.0, -v2
	;; [unrolled: 1-line block ×3, first 2 shown]
	v_add_f16_e32 v50, v2, v34
	v_fma_f16 v74, v85, 2.0, -v17
	v_add_f16_e32 v85, v84, v16
	v_sub_f16_e32 v46, v21, v23
	v_fma_f16 v51, v2, 2.0, -v50
	v_sub_f16_e32 v2, v48, v52
	v_sub_f16_e32 v33, v49, v53
	v_fma_f16 v84, v84, 2.0, -v85
	v_fma_f16 v47, v21, 2.0, -v46
	;; [unrolled: 1-line block ×5, first 2 shown]
	v_sub_f16_e32 v48, v21, v23
	v_lshl_add_u32 v23, v14, 3, 0
	v_pack_b32_f16 v17, v17, v85
	v_pack_b32_f16 v24, v74, v84
	v_sub_f16_e32 v37, v59, v73
	ds_write2_b32 v23, v24, v17 offset1:1
	v_lshl_add_u32 v24, v8, 3, 0
	v_pack_b32_f16 v17, v76, v87
	v_pack_b32_f16 v73, v86, v88
	ds_write2_b32 v24, v73, v17 offset1:1
	v_lshl_add_u32 v73, v9, 3, 0
	v_pack_b32_f16 v17, v78, v90
	v_pack_b32_f16 v74, v89, v91
	;; [unrolled: 4-line block ×3, first 2 shown]
	v_sub_f16_e32 v35, v71, v83
	v_sub_f16_e32 v36, v57, v75
	ds_write2_b32 v74, v22, v17 offset1:1
	v_lshl_add_u32 v75, v11, 3, 0
	v_pack_b32_f16 v17, v80, v95
	v_pack_b32_f16 v22, v94, v96
	v_add_f16_e32 v52, v2, v35
	ds_write2_b32 v75, v22, v17 offset1:1
	v_lshl_add_u32 v17, v12, 3, 0
	v_pack_b32_f16 v22, v81, v98
	v_pack_b32_f16 v76, v97, v99
	v_fma_f16 v49, v21, 2.0, -v48
	v_fma_f16 v53, v2, 2.0, -v52
	ds_write2_b32 v17, v76, v22 offset1:1
	v_lshl_add_u32 v76, v0, 3, 0
	v_pack_b32_f16 v22, v46, v50
	v_pack_b32_f16 v46, v47, v51
	v_sub_f16_e32 v21, v38, v77
	ds_write2_b32 v76, v46, v22 offset1:1
	v_lshl_add_u32 v77, v3, 3, 0
	v_pack_b32_f16 v22, v48, v52
	v_pack_b32_f16 v46, v49, v53
	v_add_f16_e32 v2, v37, v21
	ds_write2_b32 v77, v46, v22 offset1:1
	v_cmp_gt_u32_e64 s[0:1], 42, v14
	v_lshl_add_u32 v22, v6, 3, 0
	s_and_saveexec_b64 s[2:3], s[0:1]
	s_cbranch_execz .LBB0_17
; %bb.16:
	v_fma_f16 v46, v37, 2.0, -v2
	v_fma_f16 v37, v59, 2.0, -v37
	;; [unrolled: 1-line block ×3, first 2 shown]
	v_sub_f16_e32 v47, v37, v47
	v_fma_f16 v37, v37, 2.0, -v47
	s_mov_b32 s4, 0x5040100
	v_perm_b32 v47, v2, v47, s4
	v_pack_b32_f16 v37, v37, v46
	ds_write2_b32 v22, v37, v47 offset1:1
.LBB0_17:
	s_or_b64 exec, exec, s[2:3]
	v_sub_f16_e32 v37, v29, v40
	v_fma_f16 v29, v29, 2.0, -v37
	v_fma_f16 v16, v39, 2.0, -v16
	v_sub_f16_e32 v80, v37, v1
	v_sub_f16_e32 v1, v41, v43
	;; [unrolled: 1-line block ×3, first 2 shown]
	v_fma_f16 v16, v41, 2.0, -v1
	v_fma_f16 v18, v42, 2.0, -v18
	v_sub_f16_e32 v84, v1, v7
	v_sub_f16_e32 v82, v16, v18
	v_fma_f16 v85, v1, 2.0, -v84
	v_sub_f16_e32 v1, v44, v55
	v_fma_f16 v83, v16, 2.0, -v82
	v_fma_f16 v7, v44, 2.0, -v1
	v_fma_f16 v16, v54, 2.0, -v20
	v_sub_f16_e32 v88, v1, v13
	v_sub_f16_e32 v86, v7, v16
	v_fma_f16 v89, v1, 2.0, -v88
	v_sub_f16_e32 v1, v56, v60
	v_fma_f16 v87, v7, 2.0, -v86
	;; [unrolled: 7-line block ×4, first 2 shown]
	v_fma_f16 v7, v64, 2.0, -v1
	v_fma_f16 v13, v65, 2.0, -v32
	v_sub_f16_e32 v66, v1, v27
	v_sub_f16_e32 v64, v7, v13
	v_fma_f16 v97, v1, 2.0, -v66
	v_sub_f16_e32 v1, v67, v69
	v_lshl_add_u32 v18, v9, 1, 0
	v_lshl_add_u32 v19, v10, 1, 0
	v_fma_f16 v79, v29, 2.0, -v78
	v_fma_f16 v81, v37, 2.0, -v80
	;; [unrolled: 1-line block ×5, first 2 shown]
	v_sub_f16_e32 v69, v1, v31
	v_sub_f16_e32 v62, v28, v45
	s_waitcnt lgkmcnt(0)
	; wave barrier
	s_waitcnt lgkmcnt(0)
	v_lshl_add_u32 v16, v14, 1, 0
	ds_read_u16 v30, v18
	ds_read_u16 v49, v16 offset:1232
	ds_read_u16 v43, v16 offset:1344
	ds_read_u16 v29, v19
	ds_read_u16 v32, v16
	ds_read_u16 v50, v16 offset:672
	ds_read_u16 v48, v16 offset:784
	;; [unrolled: 1-line block ×16, first 2 shown]
	v_sub_f16_e32 v67, v7, v13
	v_fma_f16 v98, v1, 2.0, -v69
	v_sub_f16_e32 v1, v70, v72
	v_fma_f16 v68, v7, 2.0, -v67
	v_fma_f16 v7, v70, 2.0, -v1
	;; [unrolled: 1-line block ×3, first 2 shown]
	v_sub_f16_e32 v72, v1, v33
	v_sub_f16_e32 v70, v7, v13
	v_fma_f16 v99, v1, 2.0, -v72
	v_mad_i32_i24 v1, v12, -6, v17
	v_fma_f16 v71, v7, 2.0, -v70
	v_sub_f16_e32 v7, v62, v36
	v_lshl_add_u32 v13, v8, 1, 0
	v_lshl_add_u32 v20, v11, 1, 0
	ds_read_u16 v56, v1
	ds_read_u16 v1, v20
	ds_read_u16 v57, v16 offset:1120
	ds_read_u16 v27, v16 offset:1008
	;; [unrolled: 1-line block ×8, first 2 shown]
	ds_read_u16 v31, v13
	ds_read_u16 v33, v16 offset:3808
	ds_read_u16 v60, v16 offset:3360
	;; [unrolled: 1-line block ×3, first 2 shown]
	v_pack_b32_f16 v79, v79, v81
	v_pack_b32_f16 v78, v78, v80
	s_waitcnt lgkmcnt(0)
	; wave barrier
	s_waitcnt lgkmcnt(0)
	ds_write2_b32 v23, v79, v78 offset1:1
	v_pack_b32_f16 v23, v83, v85
	v_pack_b32_f16 v78, v82, v84
	ds_write2_b32 v24, v23, v78 offset1:1
	v_pack_b32_f16 v23, v87, v89
	v_pack_b32_f16 v24, v86, v88
	;; [unrolled: 3-line block ×6, first 2 shown]
	v_mul_i32_i24_e32 v61, -6, v12
	ds_write2_b32 v76, v23, v24 offset1:1
	v_pack_b32_f16 v23, v71, v99
	v_pack_b32_f16 v24, v70, v72
	ds_write2_b32 v77, v23, v24 offset1:1
	s_and_saveexec_b64 s[2:3], s[0:1]
	s_cbranch_execz .LBB0_19
; %bb.18:
	v_fma_f16 v23, v28, 2.0, -v62
	v_fma_f16 v21, v38, 2.0, -v21
	v_sub_f16_e32 v21, v23, v21
	v_fma_f16 v23, v23, 2.0, -v21
	v_fma_f16 v24, v62, 2.0, -v7
	s_mov_b32 s0, 0x5040100
	v_perm_b32 v21, v7, v21, s0
	v_pack_b32_f16 v23, v23, v24
	ds_write2_b32 v22, v23, v21 offset1:1
.LBB0_19:
	s_or_b64 exec, exec, s[2:3]
	v_and_b32_e32 v28, 3, v14
	v_mul_u32_u24_e32 v21, 6, v28
	v_lshlrev_b32_e32 v21, 2, v21
	s_waitcnt lgkmcnt(0)
	; wave barrier
	s_waitcnt lgkmcnt(0)
	global_load_dwordx4 v[62:65], v21, s[8:9]
	global_load_dwordx2 v[123:124], v21, s[8:9] offset:16
	v_add_u32_e32 v22, v17, v61
	ds_read_u16 v23, v18
	ds_read_u16 v38, v16 offset:1232
	ds_read_u16 v61, v16 offset:1344
	ds_read_u16 v21, v19
	ds_read_u16 v66, v16
	ds_read_u16 v67, v16 offset:672
	ds_read_u16 v68, v16 offset:784
	;; [unrolled: 1-line block ×24, first 2 shown]
	ds_read_u16 v86, v22
	ds_read_u16 v24, v13
	ds_read_u16 v129, v16 offset:3808
	ds_read_u16 v87, v16 offset:3360
	;; [unrolled: 1-line block ×3, first 2 shown]
	ds_read_u16 v17, v20
	s_movk_i32 s5, 0x2b26
	s_mov_b32 s4, 0xbb00
	s_mov_b32 s6, 0xbcab
	s_movk_i32 s7, 0x39e0
	s_mov_b32 s10, 0xb9e0
	s_mov_b32 s11, 0xb574
	s_movk_i32 s17, 0x3574
	s_mov_b32 s16, 0xb70e
	s_waitcnt lgkmcnt(0)
	; wave barrier
	s_waitcnt lgkmcnt(0)
	v_cmp_gt_u32_e64 s[0:1], 28, v14
	s_waitcnt vmcnt(1)
	v_mul_f16_sdwa v103, v38, v63 dst_sel:DWORD dst_unused:UNUSED_PAD src0_sel:DWORD src1_sel:WORD_1
	s_waitcnt vmcnt(0)
	v_mul_f16_sdwa v100, v60, v124 dst_sel:DWORD dst_unused:UNUSED_PAD src0_sel:DWORD src1_sel:WORD_1
	v_mul_f16_sdwa v104, v49, v63 dst_sel:DWORD dst_unused:UNUSED_PAD src0_sel:DWORD src1_sel:WORD_1
	;; [unrolled: 1-line block ×4, first 2 shown]
	v_fma_f16 v122, v87, v124, -v100
	v_fma_f16 v100, v49, v63, v103
	v_fma_f16 v103, v38, v63, -v104
	v_mul_f16_sdwa v38, v54, v123 dst_sel:DWORD dst_unused:UNUSED_PAD src0_sel:DWORD src1_sel:WORD_1
	v_mul_f16_sdwa v99, v87, v124 dst_sel:DWORD dst_unused:UNUSED_PAD src0_sel:DWORD src1_sel:WORD_1
	;; [unrolled: 1-line block ×6, first 2 shown]
	v_fma_f16 v104, v71, v64, -v106
	v_fma_f16 v106, v74, v65, -v108
	;; [unrolled: 1-line block ×3, first 2 shown]
	v_mul_f16_sdwa v38, v79, v124 dst_sel:DWORD dst_unused:UNUSED_PAD src0_sel:DWORD src1_sel:WORD_1
	v_fma_f16 v121, v60, v124, v99
	v_fma_f16 v99, v50, v62, v101
	;; [unrolled: 1-line block ×6, first 2 shown]
	v_mul_f16_sdwa v38, v52, v124 dst_sel:DWORD dst_unused:UNUSED_PAD src0_sel:DWORD src1_sel:WORD_1
	v_mul_f16_sdwa v94, v59, v64 dst_sel:DWORD dst_unused:UNUSED_PAD src0_sel:DWORD src1_sel:WORD_1
	v_fma_f16 v110, v79, v124, -v38
	v_mul_f16_sdwa v38, v68, v62 dst_sel:DWORD dst_unused:UNUSED_PAD src0_sel:DWORD src1_sel:WORD_1
	v_mul_f16_sdwa v93, v84, v64 dst_sel:DWORD dst_unused:UNUSED_PAD src0_sel:DWORD src1_sel:WORD_1
	v_fma_f16 v116, v84, v64, -v94
	v_fma_f16 v84, v48, v62, v38
	v_mul_f16_sdwa v38, v48, v62 dst_sel:DWORD dst_unused:UNUSED_PAD src0_sel:DWORD src1_sel:WORD_1
	v_mul_f16_sdwa v89, v56, v62 dst_sel:DWORD dst_unused:UNUSED_PAD src0_sel:DWORD src1_sel:WORD_1
	v_fma_f16 v87, v68, v62, -v38
	v_mul_f16_sdwa v38, v61, v63 dst_sel:DWORD dst_unused:UNUSED_PAD src0_sel:DWORD src1_sel:WORD_1
	v_mul_f16_sdwa v88, v86, v62 dst_sel:DWORD dst_unused:UNUSED_PAD src0_sel:DWORD src1_sel:WORD_1
	v_mul_f16_sdwa v90, v82, v63 dst_sel:DWORD dst_unused:UNUSED_PAD src0_sel:DWORD src1_sel:WORD_1
	v_fma_f16 v114, v86, v62, -v89
	v_fma_f16 v86, v43, v63, v38
	v_mul_f16_sdwa v38, v43, v63 dst_sel:DWORD dst_unused:UNUSED_PAD src0_sel:DWORD src1_sel:WORD_1
	v_fma_f16 v112, v57, v63, v90
	v_fma_f16 v90, v61, v63, -v38
	v_mul_f16_sdwa v38, v72, v64 dst_sel:DWORD dst_unused:UNUSED_PAD src0_sel:DWORD src1_sel:WORD_1
	v_mul_f16_sdwa v91, v57, v63 dst_sel:DWORD dst_unused:UNUSED_PAD src0_sel:DWORD src1_sel:WORD_1
	v_fma_f16 v111, v56, v62, v88
	v_fma_f16 v88, v47, v64, v38
	v_mul_f16_sdwa v38, v47, v64 dst_sel:DWORD dst_unused:UNUSED_PAD src0_sel:DWORD src1_sel:WORD_1
	v_fma_f16 v115, v82, v63, -v91
	v_fma_f16 v91, v72, v64, -v38
	v_mul_f16_sdwa v38, v75, v65 dst_sel:DWORD dst_unused:UNUSED_PAD src0_sel:DWORD src1_sel:WORD_1
	v_fma_f16 v113, v59, v64, v93
	v_fma_f16 v93, v46, v65, v38
	v_mul_f16_sdwa v38, v46, v65 dst_sel:DWORD dst_unused:UNUSED_PAD src0_sel:DWORD src1_sel:WORD_1
	v_mul_f16_sdwa v95, v83, v65 dst_sel:DWORD dst_unused:UNUSED_PAD src0_sel:DWORD src1_sel:WORD_1
	v_fma_f16 v94, v75, v65, -v38
	v_mul_f16_sdwa v38, v78, v123 dst_sel:DWORD dst_unused:UNUSED_PAD src0_sel:DWORD src1_sel:WORD_1
	v_mul_f16_sdwa v96, v55, v65 dst_sel:DWORD dst_unused:UNUSED_PAD src0_sel:DWORD src1_sel:WORD_1
	v_fma_f16 v117, v55, v65, v95
	v_fma_f16 v95, v45, v123, v38
	v_mul_f16_sdwa v38, v45, v123 dst_sel:DWORD dst_unused:UNUSED_PAD src0_sel:DWORD src1_sel:WORD_1
	v_mul_f16_sdwa v97, v85, v123 dst_sel:DWORD dst_unused:UNUSED_PAD src0_sel:DWORD src1_sel:WORD_1
	v_fma_f16 v118, v83, v65, -v96
	v_fma_f16 v96, v78, v123, -v38
	v_mul_f16_sdwa v38, v81, v124 dst_sel:DWORD dst_unused:UNUSED_PAD src0_sel:DWORD src1_sel:WORD_1
	v_mul_f16_sdwa v98, v58, v123 dst_sel:DWORD dst_unused:UNUSED_PAD src0_sel:DWORD src1_sel:WORD_1
	v_fma_f16 v119, v58, v123, v97
	v_fma_f16 v97, v44, v124, v38
	v_mul_f16_sdwa v38, v44, v124 dst_sel:DWORD dst_unused:UNUSED_PAD src0_sel:DWORD src1_sel:WORD_1
	v_fma_f16 v120, v85, v123, -v98
	v_fma_f16 v98, v81, v124, -v38
	v_mul_f16_sdwa v38, v69, v62 dst_sel:DWORD dst_unused:UNUSED_PAD src0_sel:DWORD src1_sel:WORD_1
	v_fma_f16 v72, v42, v62, v38
	v_mul_f16_sdwa v38, v42, v62 dst_sel:DWORD dst_unused:UNUSED_PAD src0_sel:DWORD src1_sel:WORD_1
	v_fma_f16 v75, v69, v62, -v38
	v_mul_f16_sdwa v38, v70, v63 dst_sel:DWORD dst_unused:UNUSED_PAD src0_sel:DWORD src1_sel:WORD_1
	v_fma_f16 v74, v41, v63, v38
	v_mul_f16_sdwa v38, v41, v63 dst_sel:DWORD dst_unused:UNUSED_PAD src0_sel:DWORD src1_sel:WORD_1
	;; [unrolled: 4-line block ×4, first 2 shown]
	v_fma_f16 v82, v77, v65, -v37
	v_mul_f16_sdwa v37, v80, v123 dst_sel:DWORD dst_unused:UNUSED_PAD src0_sel:DWORD src1_sel:WORD_1
	v_mul_f16_sdwa v102, v50, v62 dst_sel:DWORD dst_unused:UNUSED_PAD src0_sel:DWORD src1_sel:WORD_1
	v_fma_f16 v83, v26, v123, v37
	v_mul_f16_sdwa v37, v39, v63 dst_sel:DWORD dst_unused:UNUSED_PAD src0_sel:DWORD src1_sel:WORD_1
	v_fma_f16 v102, v67, v62, -v102
	v_fma_f16 v67, v127, v63, -v37
	v_mul_f16_sdwa v37, v126, v64 dst_sel:DWORD dst_unused:UNUSED_PAD src0_sel:DWORD src1_sel:WORD_1
	v_fma_f16 v48, v34, v64, v37
	v_mul_f16_sdwa v34, v34, v64 dst_sel:DWORD dst_unused:UNUSED_PAD src0_sel:DWORD src1_sel:WORD_1
	v_fma_f16 v68, v126, v64, -v34
	v_mul_f16_sdwa v34, v128, v65 dst_sel:DWORD dst_unused:UNUSED_PAD src0_sel:DWORD src1_sel:WORD_1
	v_fma_f16 v69, v35, v65, v34
	v_mul_f16_sdwa v34, v35, v65 dst_sel:DWORD dst_unused:UNUSED_PAD src0_sel:DWORD src1_sel:WORD_1
	v_mul_f16_sdwa v26, v26, v123 dst_sel:DWORD dst_unused:UNUSED_PAD src0_sel:DWORD src1_sel:WORD_1
	v_fma_f16 v70, v128, v65, -v34
	v_mul_f16_sdwa v34, v130, v123 dst_sel:DWORD dst_unused:UNUSED_PAD src0_sel:DWORD src1_sel:WORD_1
	v_fma_f16 v85, v80, v123, -v26
	v_mul_f16_sdwa v26, v92, v124 dst_sel:DWORD dst_unused:UNUSED_PAD src0_sel:DWORD src1_sel:WORD_1
	v_fma_f16 v71, v36, v123, v34
	v_mul_f16_sdwa v34, v36, v123 dst_sel:DWORD dst_unused:UNUSED_PAD src0_sel:DWORD src1_sel:WORD_1
	v_fma_f16 v89, v25, v124, v26
	v_mul_f16_sdwa v25, v25, v124 dst_sel:DWORD dst_unused:UNUSED_PAD src0_sel:DWORD src1_sel:WORD_1
	v_fma_f16 v73, v130, v123, -v34
	v_mul_f16_sdwa v34, v129, v124 dst_sel:DWORD dst_unused:UNUSED_PAD src0_sel:DWORD src1_sel:WORD_1
	v_fma_f16 v92, v92, v124, -v25
	v_mul_f16_sdwa v25, v125, v62 dst_sel:DWORD dst_unused:UNUSED_PAD src0_sel:DWORD src1_sel:WORD_1
	v_mul_f16_sdwa v26, v27, v62 dst_sel:DWORD dst_unused:UNUSED_PAD src0_sel:DWORD src1_sel:WORD_1
	v_fma_f16 v77, v33, v124, v34
	v_mul_f16_sdwa v33, v33, v124 dst_sel:DWORD dst_unused:UNUSED_PAD src0_sel:DWORD src1_sel:WORD_1
	v_fma_f16 v25, v27, v62, v25
	v_fma_f16 v27, v125, v62, -v26
	v_mul_f16_sdwa v26, v127, v63 dst_sel:DWORD dst_unused:UNUSED_PAD src0_sel:DWORD src1_sel:WORD_1
	v_fma_f16 v80, v129, v124, -v33
	v_add_f16_e32 v33, v111, v121
	v_add_f16_e32 v35, v112, v119
	v_fma_f16 v26, v39, v63, v26
	v_sub_f16_e32 v34, v114, v122
	v_sub_f16_e32 v36, v115, v120
	v_add_f16_e32 v37, v113, v117
	v_sub_f16_e32 v38, v118, v116
	v_add_f16_e32 v39, v35, v33
	v_sub_f16_e32 v40, v35, v33
	v_sub_f16_e32 v33, v33, v37
	;; [unrolled: 1-line block ×3, first 2 shown]
	v_add_f16_e32 v41, v38, v36
	v_sub_f16_e32 v42, v38, v36
	v_sub_f16_e32 v36, v36, v34
	v_add_f16_e32 v37, v37, v39
	v_sub_f16_e32 v38, v34, v38
	v_add_f16_e32 v34, v41, v34
	v_add_f16_e32 v32, v32, v37
	v_mul_f16_e32 v33, 0x3a52, v33
	v_mul_f16_e32 v39, 0x2b26, v35
	;; [unrolled: 1-line block ×4, first 2 shown]
	v_fma_f16 v37, v37, s6, v32
	v_fma_f16 v35, v35, s5, v33
	v_fma_f16 v39, v40, s7, -v39
	v_fma_f16 v33, v40, s10, -v33
	v_fma_f16 v40, v38, s11, v41
	v_fma_f16 v36, v36, s4, -v41
	v_fma_f16 v38, v38, s17, -v42
	v_add_f16_e32 v35, v35, v37
	v_add_f16_e32 v39, v39, v37
	;; [unrolled: 1-line block ×3, first 2 shown]
	v_fma_f16 v37, v34, s16, v40
	v_fma_f16 v36, v34, s16, v36
	v_fma_f16 v34, v34, s16, v38
	v_add_f16_e32 v38, v37, v35
	v_add_f16_e32 v40, v34, v33
	v_sub_f16_e32 v41, v39, v36
	v_add_f16_e32 v36, v36, v39
	v_sub_f16_e32 v33, v33, v34
	v_sub_f16_e32 v34, v35, v37
	v_add_f16_e32 v35, v99, v109
	v_add_f16_e32 v39, v100, v107
	v_sub_f16_e32 v37, v102, v110
	v_sub_f16_e32 v42, v103, v108
	v_add_f16_e32 v43, v101, v105
	v_sub_f16_e32 v44, v106, v104
	v_add_f16_e32 v45, v39, v35
	v_sub_f16_e32 v46, v39, v35
	v_sub_f16_e32 v35, v35, v43
	;; [unrolled: 1-line block ×3, first 2 shown]
	v_add_f16_e32 v47, v44, v42
	v_sub_f16_e32 v49, v44, v42
	v_sub_f16_e32 v42, v42, v37
	v_add_f16_e32 v43, v43, v45
	v_sub_f16_e32 v44, v37, v44
	v_add_f16_e32 v37, v47, v37
	v_add_f16_e32 v31, v31, v43
	v_mul_f16_e32 v35, 0x3a52, v35
	v_mul_f16_e32 v45, 0x2b26, v39
	;; [unrolled: 1-line block ×4, first 2 shown]
	v_fma_f16 v43, v43, s6, v31
	v_fma_f16 v39, v39, s5, v35
	v_fma_f16 v45, v46, s7, -v45
	v_fma_f16 v35, v46, s10, -v35
	v_fma_f16 v46, v44, s11, v47
	v_fma_f16 v42, v42, s4, -v47
	v_fma_f16 v44, v44, s17, -v49
	v_add_f16_e32 v39, v39, v43
	v_add_f16_e32 v45, v45, v43
	;; [unrolled: 1-line block ×3, first 2 shown]
	v_fma_f16 v43, v37, s16, v46
	v_fma_f16 v42, v37, s16, v42
	;; [unrolled: 1-line block ×3, first 2 shown]
	v_add_f16_e32 v44, v43, v39
	v_add_f16_e32 v46, v37, v35
	v_sub_f16_e32 v47, v45, v42
	v_add_f16_e32 v42, v42, v45
	v_sub_f16_e32 v35, v35, v37
	v_sub_f16_e32 v37, v39, v43
	v_add_f16_e32 v39, v84, v97
	v_add_f16_e32 v45, v86, v95
	v_sub_f16_e32 v43, v87, v98
	v_sub_f16_e32 v49, v90, v96
	v_add_f16_e32 v50, v88, v93
	v_sub_f16_e32 v51, v94, v91
	v_add_f16_e32 v52, v45, v39
	v_sub_f16_e32 v53, v45, v39
	v_sub_f16_e32 v39, v39, v50
	;; [unrolled: 1-line block ×3, first 2 shown]
	v_add_f16_e32 v54, v51, v49
	v_sub_f16_e32 v55, v51, v49
	v_sub_f16_e32 v49, v49, v43
	v_add_f16_e32 v50, v50, v52
	v_sub_f16_e32 v51, v43, v51
	v_add_f16_e32 v43, v54, v43
	v_add_f16_e32 v52, v30, v50
	v_mul_f16_e32 v30, 0x3a52, v39
	v_mul_f16_e32 v39, 0x2b26, v45
	;; [unrolled: 1-line block ×4, first 2 shown]
	v_fma_f16 v50, v50, s6, v52
	v_fma_f16 v45, v45, s5, v30
	v_fma_f16 v39, v53, s7, -v39
	v_fma_f16 v30, v53, s10, -v30
	v_fma_f16 v53, v51, s11, v54
	v_fma_f16 v49, v49, s4, -v54
	v_fma_f16 v51, v51, s17, -v55
	v_add_f16_e32 v45, v45, v50
	v_add_f16_e32 v39, v39, v50
	;; [unrolled: 1-line block ×3, first 2 shown]
	v_fma_f16 v50, v43, s16, v53
	v_fma_f16 v49, v43, s16, v49
	;; [unrolled: 1-line block ×3, first 2 shown]
	v_add_f16_e32 v51, v50, v45
	v_add_f16_e32 v53, v43, v30
	v_sub_f16_e32 v43, v30, v43
	v_sub_f16_e32 v45, v45, v50
	v_add_f16_e32 v30, v72, v89
	v_add_f16_e32 v50, v74, v83
	v_sub_f16_e32 v54, v39, v49
	v_add_f16_e32 v39, v49, v39
	v_sub_f16_e32 v49, v75, v92
	v_sub_f16_e32 v55, v78, v85
	v_add_f16_e32 v56, v76, v81
	v_sub_f16_e32 v57, v82, v79
	v_add_f16_e32 v58, v50, v30
	v_sub_f16_e32 v59, v50, v30
	v_sub_f16_e32 v30, v30, v56
	;; [unrolled: 1-line block ×3, first 2 shown]
	v_add_f16_e32 v60, v57, v55
	v_sub_f16_e32 v61, v57, v55
	v_sub_f16_e32 v55, v55, v49
	v_add_f16_e32 v56, v56, v58
	v_sub_f16_e32 v57, v49, v57
	v_add_f16_e32 v49, v60, v49
	v_add_f16_e32 v29, v29, v56
	v_mul_f16_e32 v30, 0x3a52, v30
	v_mul_f16_e32 v58, 0x2b26, v50
	;; [unrolled: 1-line block ×4, first 2 shown]
	v_fma_f16 v56, v56, s6, v29
	v_fma_f16 v50, v50, s5, v30
	v_fma_f16 v58, v59, s7, -v58
	v_fma_f16 v30, v59, s10, -v30
	v_fma_f16 v59, v57, s11, v60
	v_fma_f16 v55, v55, s4, -v60
	v_fma_f16 v57, v57, s17, -v61
	v_add_f16_e32 v50, v50, v56
	v_add_f16_e32 v58, v58, v56
	;; [unrolled: 1-line block ×3, first 2 shown]
	v_fma_f16 v56, v49, s16, v59
	v_fma_f16 v55, v49, s16, v55
	;; [unrolled: 1-line block ×3, first 2 shown]
	v_add_f16_e32 v59, v49, v30
	v_sub_f16_e32 v60, v58, v55
	v_add_f16_e32 v55, v55, v58
	v_sub_f16_e32 v49, v30, v49
	v_add_f16_e32 v30, v25, v77
	v_add_f16_e32 v58, v26, v71
	;; [unrolled: 1-line block ×3, first 2 shown]
	v_sub_f16_e32 v50, v50, v56
	v_sub_f16_e32 v56, v27, v80
	;; [unrolled: 1-line block ×3, first 2 shown]
	v_add_f16_e32 v62, v48, v69
	v_sub_f16_e32 v63, v70, v68
	v_add_f16_e32 v64, v58, v30
	v_sub_f16_e32 v65, v58, v30
	v_sub_f16_e32 v30, v30, v62
	;; [unrolled: 1-line block ×3, first 2 shown]
	v_add_f16_e32 v123, v63, v61
	v_sub_f16_e32 v124, v63, v61
	v_sub_f16_e32 v61, v61, v56
	v_add_f16_e32 v62, v62, v64
	v_sub_f16_e32 v63, v56, v63
	v_add_f16_e32 v56, v123, v56
	v_add_f16_e32 v1, v1, v62
	v_mul_f16_e32 v30, 0x3a52, v30
	v_mul_f16_e32 v64, 0x2b26, v58
	;; [unrolled: 1-line block ×4, first 2 shown]
	v_fma_f16 v62, v62, s6, v1
	v_fma_f16 v58, v58, s5, v30
	v_fma_f16 v64, v65, s7, -v64
	v_fma_f16 v30, v65, s10, -v30
	v_fma_f16 v65, v63, s11, v123
	v_fma_f16 v61, v61, s4, -v123
	v_fma_f16 v63, v63, s17, -v124
	v_add_f16_e32 v58, v58, v62
	v_add_f16_e32 v64, v64, v62
	;; [unrolled: 1-line block ×3, first 2 shown]
	v_fma_f16 v62, v56, s16, v65
	v_fma_f16 v61, v56, s16, v61
	;; [unrolled: 1-line block ×3, first 2 shown]
	v_add_f16_e32 v63, v62, v58
	v_add_f16_e32 v65, v56, v30
	v_sub_f16_e32 v56, v30, v56
	v_sub_f16_e32 v30, v58, v62
	v_lshrrev_b32_e32 v58, 2, v14
	v_mul_u32_u24_e32 v58, 28, v58
	v_or_b32_e32 v58, v58, v28
	v_lshl_add_u32 v123, v58, 1, 0
	ds_write_b16 v123, v32
	ds_write_b16 v123, v38 offset:8
	ds_write_b16 v123, v40 offset:16
	;; [unrolled: 1-line block ×3, first 2 shown]
	v_lshrrev_b32_e32 v32, 2, v8
	v_mul_lo_u32 v32, v32, 28
	ds_write_b16 v123, v36 offset:32
	ds_write_b16 v123, v33 offset:40
	;; [unrolled: 1-line block ×3, first 2 shown]
	v_sub_f16_e32 v128, v64, v61
	v_add_f16_e32 v61, v61, v64
	v_or_b32_e32 v32, v32, v28
	v_lshl_add_u32 v124, v32, 1, 0
	ds_write_b16 v124, v31
	ds_write_b16 v124, v44 offset:8
	ds_write_b16 v124, v46 offset:16
	;; [unrolled: 1-line block ×3, first 2 shown]
	v_lshrrev_b32_e32 v31, 2, v9
	v_mul_lo_u32 v31, v31, 28
	ds_write_b16 v124, v42 offset:32
	ds_write_b16 v124, v35 offset:40
	;; [unrolled: 1-line block ×3, first 2 shown]
	v_or_b32_e32 v31, v31, v28
	v_lshl_add_u32 v125, v31, 1, 0
	v_lshrrev_b32_e32 v31, 2, v10
	v_mul_lo_u32 v31, v31, 28
	ds_write_b16 v125, v52
	ds_write_b16 v125, v51 offset:8
	ds_write_b16 v125, v53 offset:16
	;; [unrolled: 1-line block ×6, first 2 shown]
	v_or_b32_e32 v31, v31, v28
	v_lshl_add_u32 v126, v31, 1, 0
	ds_write_b16 v126, v29
	ds_write_b16 v126, v57 offset:8
	ds_write_b16 v126, v59 offset:16
	;; [unrolled: 1-line block ×3, first 2 shown]
	v_lshrrev_b32_e32 v29, 2, v11
	v_mul_lo_u32 v29, v29, 28
	ds_write_b16 v126, v55 offset:32
	ds_write_b16 v126, v49 offset:40
	;; [unrolled: 1-line block ×3, first 2 shown]
	v_or_b32_e32 v28, v29, v28
	v_lshl_add_u32 v127, v28, 1, 0
	ds_write_b16 v127, v1
	ds_write_b16 v127, v63 offset:8
	ds_write_b16 v127, v65 offset:16
	;; [unrolled: 1-line block ×6, first 2 shown]
	s_waitcnt lgkmcnt(0)
	; wave barrier
	s_waitcnt lgkmcnt(0)
	v_lshl_add_u32 v29, v0, 1, 0
	ds_read_u16 v36, v16 offset:2072
	ds_read_u16 v35, v16 offset:2184
	;; [unrolled: 1-line block ×6, first 2 shown]
	v_lshl_add_u32 v28, v3, 1, 0
	ds_read_u16 v54, v18
	ds_read_u16 v53, v19
	;; [unrolled: 1-line block ×5, first 2 shown]
	v_lshl_add_u32 v1, v6, 1, 0
	ds_read_u16 v55, v22
	ds_read_u16 v51, v1
	ds_read_u16 v44, v16 offset:2744
	ds_read_u16 v37, v16 offset:2856
	;; [unrolled: 1-line block ×8, first 2 shown]
	ds_read_u16 v64, v16
	ds_read_u16 v63, v16 offset:1008
	ds_read_u16 v62, v16 offset:1120
	;; [unrolled: 1-line block ×10, first 2 shown]
	ds_read_u16 v65, v13
	ds_read_u16 v46, v16 offset:3752
	s_and_saveexec_b64 s[2:3], s[0:1]
	s_cbranch_execz .LBB0_21
; %bb.20:
	ds_read_u16 v30, v16 offset:1904
	ds_read_u16 v2, v16 offset:3864
.LBB0_21:
	s_or_b64 exec, exec, s[2:3]
	v_add_f16_e32 v102, v102, v110
	v_add_f16_e32 v103, v103, v108
	;; [unrolled: 1-line block ×10, first 2 shown]
	v_sub_f16_e32 v99, v99, v109
	v_sub_f16_e32 v100, v100, v107
	v_add_f16_e32 v104, v104, v106
	v_sub_f16_e32 v101, v105, v101
	v_add_f16_e32 v105, v103, v102
	v_sub_f16_e32 v84, v84, v97
	v_sub_f16_e32 v86, v86, v95
	v_add_f16_e32 v91, v91, v94
	v_sub_f16_e32 v88, v93, v88
	v_add_f16_e32 v93, v90, v87
	;; [unrolled: 5-line block ×5, first 2 shown]
	v_sub_f16_e32 v106, v103, v102
	v_sub_f16_e32 v102, v102, v104
	v_sub_f16_e32 v103, v104, v103
	v_add_f16_e32 v107, v101, v100
	v_sub_f16_e32 v108, v101, v100
	v_sub_f16_e32 v100, v100, v99
	v_add_f16_e32 v104, v104, v105
	v_sub_f16_e32 v94, v90, v87
	v_sub_f16_e32 v87, v87, v91
	v_sub_f16_e32 v90, v91, v90
	v_add_f16_e32 v95, v88, v86
	v_sub_f16_e32 v96, v88, v86
	v_sub_f16_e32 v86, v86, v84
	v_add_f16_e32 v91, v91, v93
	v_sub_f16_e32 v82, v78, v75
	v_sub_f16_e32 v75, v75, v79
	v_sub_f16_e32 v78, v79, v78
	v_add_f16_e32 v83, v76, v74
	v_sub_f16_e32 v85, v76, v74
	v_sub_f16_e32 v74, v74, v72
	v_add_f16_e32 v79, v79, v81
	v_sub_f16_e32 v70, v67, v27
	v_sub_f16_e32 v27, v27, v68
	v_sub_f16_e32 v67, v68, v67
	v_add_f16_e32 v71, v48, v26
	v_sub_f16_e32 v73, v48, v26
	v_sub_f16_e32 v26, v26, v25
	v_add_f16_e32 v68, v68, v69
	v_sub_f16_e32 v118, v115, v114
	v_sub_f16_e32 v114, v114, v116
	v_sub_f16_e32 v115, v116, v115
	v_add_f16_e32 v119, v113, v112
	v_sub_f16_e32 v120, v113, v112
	v_sub_f16_e32 v112, v112, v111
	v_add_f16_e32 v116, v116, v117
	v_sub_f16_e32 v101, v99, v101
	v_add_f16_e32 v99, v107, v99
	v_add_f16_e32 v24, v24, v104
	v_mul_f16_e32 v102, 0x3a52, v102
	v_mul_f16_e32 v105, 0x2b26, v103
	v_mul_f16_e32 v107, 0x3846, v108
	v_mul_f16_e32 v108, 0xbb00, v100
	v_sub_f16_e32 v88, v84, v88
	v_add_f16_e32 v84, v95, v84
	v_add_f16_e32 v23, v23, v91
	v_mul_f16_e32 v87, 0x3a52, v87
	v_mul_f16_e32 v93, 0x2b26, v90
	v_mul_f16_e32 v95, 0x3846, v96
	v_mul_f16_e32 v96, 0xbb00, v86
	;; [unrolled: 7-line block ×5, first 2 shown]
	v_fma_f16 v104, v104, s6, v24
	v_fma_f16 v103, v103, s5, v102
	v_fma_f16 v105, v106, s7, -v105
	v_fma_f16 v102, v106, s10, -v102
	v_fma_f16 v106, v101, s11, v107
	v_fma_f16 v100, v100, s4, -v107
	v_fma_f16 v101, v101, s17, -v108
	v_fma_f16 v91, v91, s6, v23
	v_fma_f16 v90, v90, s5, v87
	v_fma_f16 v93, v94, s7, -v93
	v_fma_f16 v87, v94, s10, -v87
	v_fma_f16 v94, v88, s11, v95
	v_fma_f16 v86, v86, s4, -v95
	v_fma_f16 v88, v88, s17, -v96
	;; [unrolled: 7-line block ×5, first 2 shown]
	v_add_f16_e32 v103, v103, v104
	v_add_f16_e32 v105, v105, v104
	v_add_f16_e32 v102, v102, v104
	v_fma_f16 v104, v99, s16, v106
	v_fma_f16 v100, v99, s16, v100
	v_fma_f16 v99, v99, s16, v101
	v_add_f16_e32 v90, v90, v91
	v_add_f16_e32 v93, v93, v91
	v_add_f16_e32 v87, v87, v91
	v_fma_f16 v91, v84, s16, v94
	v_fma_f16 v86, v84, s16, v86
	v_fma_f16 v84, v84, s16, v88
	;; [unrolled: 6-line block ×5, first 2 shown]
	v_sub_f16_e32 v106, v102, v99
	v_add_f16_e32 v99, v99, v102
	v_sub_f16_e32 v88, v90, v91
	v_sub_f16_e32 v94, v87, v84
	v_add_f16_e32 v95, v86, v93
	v_sub_f16_e32 v86, v93, v86
	v_add_f16_e32 v84, v84, v87
	v_add_f16_e32 v87, v91, v90
	v_sub_f16_e32 v76, v78, v79
	v_sub_f16_e32 v82, v75, v72
	v_add_f16_e32 v83, v74, v81
	v_sub_f16_e32 v74, v81, v74
	v_add_f16_e32 v72, v72, v75
	v_add_f16_e32 v75, v79, v78
	v_sub_f16_e32 v70, v67, v68
	v_sub_f16_e32 v71, v27, v25
	v_add_f16_e32 v73, v26, v69
	v_sub_f16_e32 v113, v115, v116
	v_sub_f16_e32 v118, v114, v111
	v_add_f16_e32 v119, v112, v117
	v_sub_f16_e32 v112, v117, v112
	v_add_f16_e32 v111, v111, v114
	v_add_f16_e32 v114, v116, v115
	v_sub_f16_e32 v101, v103, v104
	v_add_f16_e32 v107, v100, v105
	v_sub_f16_e32 v100, v105, v100
	;; [unrolled: 2-line block ×3, first 2 shown]
	v_add_f16_e32 v25, v25, v27
	v_add_f16_e32 v48, v68, v67
	s_waitcnt lgkmcnt(0)
	; wave barrier
	s_waitcnt lgkmcnt(0)
	ds_write_b16 v123, v66
	ds_write_b16 v123, v113 offset:8
	ds_write_b16 v123, v118 offset:16
	ds_write_b16 v123, v119 offset:24
	ds_write_b16 v123, v112 offset:32
	ds_write_b16 v123, v111 offset:40
	ds_write_b16 v123, v114 offset:48
	ds_write_b16 v124, v24
	ds_write_b16 v124, v101 offset:8
	ds_write_b16 v124, v106 offset:16
	ds_write_b16 v124, v107 offset:24
	ds_write_b16 v124, v100 offset:32
	ds_write_b16 v124, v99 offset:40
	ds_write_b16 v124, v102 offset:48
	;; [unrolled: 7-line block ×5, first 2 shown]
	s_waitcnt lgkmcnt(0)
	; wave barrier
	s_waitcnt lgkmcnt(0)
	ds_read_u16 v81, v16 offset:2072
	ds_read_u16 v82, v16 offset:2184
	;; [unrolled: 1-line block ×6, first 2 shown]
	ds_read_u16 v72, v18
	ds_read_u16 v70, v19
	;; [unrolled: 1-line block ×7, first 2 shown]
	ds_read_u16 v95, v16 offset:2744
	ds_read_u16 v88, v16 offset:2856
	ds_read_u16 v89, v16 offset:2968
	ds_read_u16 v90, v16 offset:3080
	ds_read_u16 v91, v16 offset:3192
	ds_read_u16 v92, v16 offset:3304
	ds_read_u16 v93, v16 offset:3416
	ds_read_u16 v94, v16 offset:3528
	ds_read_u16 v87, v16
	ds_read_u16 v80, v16 offset:1008
	ds_read_u16 v79, v16 offset:1120
	;; [unrolled: 1-line block ×10, first 2 shown]
	ds_read_u16 v96, v13
	ds_read_u16 v98, v16 offset:3752
	s_and_saveexec_b64 s[2:3], s[0:1]
	s_cbranch_execz .LBB0_23
; %bb.22:
	ds_read_u16 v48, v16 offset:1904
	ds_read_u16 v7, v16 offset:3864
.LBB0_23:
	s_or_b64 exec, exec, s[2:3]
	v_subrev_u32_e32 v25, 28, v14
	v_cndmask_b32_e64 v109, v25, v14, s[0:1]
	v_mov_b32_e32 v110, 0
	v_lshlrev_b64 v[100:101], 2, v[109:110]
	v_mov_b32_e32 v25, s9
	v_add_co_u32_e64 v107, s[2:3], s8, v100
	v_addc_co_u32_e64 v108, s[2:3], v25, v101, s[2:3]
	v_lshrrev_b16_e32 v25, 2, v8
	v_lshrrev_b16_e32 v101, 2, v9
	v_and_b32_e32 v25, 63, v25
	v_and_b32_e32 v101, 63, v101
	v_mul_lo_u16_e32 v116, 37, v25
	v_mov_b32_e32 v25, 28
	v_mul_lo_u16_e32 v118, 37, v101
	v_mul_lo_u16_sdwa v101, v118, v25 dst_sel:DWORD dst_unused:UNUSED_PAD src0_sel:BYTE_1 src1_sel:DWORD
	v_sub_u16_e32 v120, v9, v101
	v_lshrrev_b16_e32 v101, 2, v10
	v_and_b32_e32 v101, 63, v101
	v_mul_lo_u16_e32 v121, 37, v101
	v_lshrrev_b16_e32 v101, 2, v12
	v_mul_u32_u24_e32 v101, 0x4925, v101
	v_lshrrev_b32_e32 v125, 17, v101
	v_mul_lo_u16_e32 v101, 28, v125
	v_sub_u16_e32 v126, v12, v101
	v_lshrrev_b16_e32 v101, 2, v0
	v_mul_u32_u24_e32 v101, 0x4925, v101
	v_mul_lo_u16_sdwa v27, v116, v25 dst_sel:DWORD dst_unused:UNUSED_PAD src0_sel:BYTE_1 src1_sel:DWORD
	v_mul_lo_u16_sdwa v25, v121, v25 dst_sel:DWORD dst_unused:UNUSED_PAD src0_sel:BYTE_1 src1_sel:DWORD
	v_lshrrev_b32_e32 v127, 17, v101
	v_sub_u16_e32 v117, v8, v27
	v_mov_b32_e32 v27, 2
	v_sub_u16_e32 v122, v10, v25
	v_mul_lo_u16_e32 v101, 28, v127
	v_lshlrev_b32_sdwa v100, v27, v117 dst_sel:DWORD dst_unused:UNUSED_PAD src0_sel:DWORD src1_sel:BYTE_0
	v_lshlrev_b32_sdwa v110, v27, v120 dst_sel:DWORD dst_unused:UNUSED_PAD src0_sel:DWORD src1_sel:BYTE_0
	;; [unrolled: 1-line block ×3, first 2 shown]
	v_lshrrev_b16_e32 v27, 2, v11
	v_sub_u16_e32 v128, v0, v101
	v_lshrrev_b16_e32 v101, 2, v3
	v_mul_u32_u24_e32 v27, 0x4925, v27
	v_mul_u32_u24_e32 v101, 0x4925, v101
	v_lshrrev_b32_e32 v123, 17, v27
	v_lshrrev_b32_e32 v129, 17, v101
	v_mul_lo_u16_e32 v27, 28, v123
	v_mul_lo_u16_e32 v101, 28, v129
	v_sub_u16_e32 v124, v11, v27
	v_sub_u16_e32 v130, v3, v101
	v_lshlrev_b32_e32 v27, 2, v124
	v_lshlrev_b32_e32 v111, 2, v126
	v_lshlrev_b32_e32 v112, 2, v128
	v_lshlrev_b32_e32 v113, 2, v130
	global_load_dword v106, v[107:108], off offset:96
	global_load_dword v105, v100, s[8:9] offset:96
	global_load_dword v104, v110, s[8:9] offset:96
	;; [unrolled: 1-line block ×6, first 2 shown]
                                        ; kill: killed $vgpr27
                                        ; kill: killed $vgpr110
                                        ; kill: killed $vgpr111
                                        ; kill: killed $vgpr112
                                        ; kill: killed $vgpr25
                                        ; kill: killed $vgpr100
                                        ; kill: killed $vgpr107 killed $vgpr108
	global_load_dword v107, v113, s[8:9] offset:96
	v_add_u16_e32 v100, 0x268, v14
	v_lshrrev_b16_e32 v108, 2, v100
	v_mul_u32_u24_e32 v108, 0x4925, v108
	v_lshrrev_b32_e32 v137, 17, v108
	v_add_u32_e32 v17, 0x2a0, v14
	v_mul_lo_u16_e32 v108, 28, v137
	v_sub_u16_e32 v138, v100, v108
	v_lshrrev_b16_e32 v108, 2, v17
	v_mul_u32_u24_e32 v108, 0x4925, v108
	v_lshrrev_b32_e32 v139, 17, v108
	v_lshrrev_b16_e32 v25, 2, v6
	v_mul_lo_u16_e32 v108, 28, v139
	v_mul_u32_u24_e32 v25, 0x4925, v25
	v_sub_u16_e32 v140, v17, v108
	v_add_u16_e32 v108, 0x2d8, v14
	v_lshrrev_b32_e32 v131, 17, v25
	v_lshrrev_b16_e32 v110, 2, v108
	v_add_u32_e32 v23, 0x1f8, v14
	v_add_u32_e32 v21, 0x230, v14
	v_mul_lo_u16_e32 v25, 28, v131
	v_mul_u32_u24_e32 v110, 0x4925, v110
	v_sub_u16_e32 v132, v6, v25
	v_lshrrev_b16_e32 v25, 2, v23
	v_lshrrev_b16_e32 v27, 2, v21
	v_lshrrev_b32_e32 v141, 17, v110
	v_add_u32_e32 v26, 0x310, v14
	v_mul_u32_u24_e32 v25, 0x4925, v25
	v_mul_u32_u24_e32 v27, 0x4925, v27
	v_mul_lo_u16_e32 v110, 28, v141
	v_lshrrev_b32_e32 v133, 17, v25
	v_lshrrev_b32_e32 v135, 17, v27
	v_sub_u16_e32 v142, v108, v110
	v_lshrrev_b16_e32 v108, 2, v26
	v_mul_lo_u16_e32 v25, 28, v133
	v_mul_lo_u16_e32 v27, 28, v135
	v_mul_u32_u24_e32 v108, 0x4925, v108
	v_lshlrev_b32_e32 v6, 2, v132
	v_sub_u16_e32 v134, v23, v25
	v_sub_u16_e32 v136, v21, v27
	v_lshrrev_b32_e32 v143, 17, v108
	v_add_u32_e32 v24, 0x348, v14
	v_lshlrev_b32_e32 v25, 2, v134
	v_lshlrev_b32_e32 v27, 2, v136
	;; [unrolled: 1-line block ×3, first 2 shown]
	v_mul_lo_u16_e32 v108, 28, v143
	global_load_dword v6, v6, s[8:9] offset:96
	v_sub_u16_e32 v144, v26, v108
	global_load_dword v108, v25, s[8:9] offset:96
	global_load_dword v110, v27, s[8:9] offset:96
	v_lshlrev_b32_e32 v100, 2, v138
	global_load_dword v113, v113, s[8:9] offset:96
	v_lshrrev_b16_e32 v25, 2, v24
	v_mul_u32_u24_e32 v25, 0x4925, v25
	v_lshlrev_b32_e32 v112, 2, v140
	global_load_dword v111, v100, s[8:9] offset:96
	v_lshrrev_b32_e32 v145, 17, v25
	global_load_dword v112, v112, s[8:9] offset:96
	v_mul_lo_u16_e32 v25, 28, v145
	v_lshlrev_b32_e32 v114, 2, v144
	v_sub_u16_e32 v146, v24, v25
	global_load_dword v114, v114, s[8:9] offset:96
	v_lshlrev_b32_e32 v25, 2, v146
	global_load_dword v115, v25, s[8:9] offset:96
	v_or_b32_e32 v27, 0x380, v14
	v_lshrrev_b16_e32 v25, 2, v27
	s_waitcnt vmcnt(15) lgkmcnt(3)
	v_mul_f16_sdwa v100, v99, v106 dst_sel:DWORD dst_unused:UNUSED_PAD src0_sel:DWORD src1_sel:WORD_1
	v_fma_f16 v149, v47, v106, v100
	s_waitcnt vmcnt(14)
	v_mul_f16_sdwa v100, v81, v105 dst_sel:DWORD dst_unused:UNUSED_PAD src0_sel:DWORD src1_sel:WORD_1
	v_fma_f16 v150, v36, v105, v100
	s_waitcnt vmcnt(13)
	;; [unrolled: 3-line block ×6, first 2 shown]
	v_mul_f16_sdwa v100, v86, v3 dst_sel:DWORD dst_unused:UNUSED_PAD src0_sel:DWORD src1_sel:WORD_1
	v_mul_u32_u24_e32 v25, 0x4925, v25
	v_fma_f16 v155, v32, v3, v100
	s_waitcnt vmcnt(8)
	v_mul_f16_sdwa v100, v95, v107 dst_sel:DWORD dst_unused:UNUSED_PAD src0_sel:DWORD src1_sel:WORD_1
	v_lshrrev_b32_e32 v147, 17, v25
	v_fma_f16 v156, v44, v107, v100
	v_mul_lo_u16_e32 v25, 28, v147
	v_sub_u16_e32 v148, v27, v25
	v_lshlrev_b32_e32 v25, 2, v148
	global_load_dword v119, v25, s[8:9] offset:96
	v_add_u32_e32 v25, 0x3b8, v14
	v_mov_b32_e32 v167, 0x70
	v_cmp_lt_u32_e64 s[2:3], 27, v14
	v_sub_f16_e32 v149, v64, v149
	v_cndmask_b32_e64 v167, 0, v167, s[2:3]
	v_lshlrev_b32_e32 v109, 1, v109
	v_fma_f16 v64, v64, 2.0, -v149
	v_add3_u32 v109, 0, v167, v109
	s_movk_i32 s4, 0x70
	v_sub_f16_e32 v150, v65, v150
	v_fma_f16 v65, v65, 2.0, -v150
	v_sub_f16_e32 v151, v54, v151
	v_fma_f16 v54, v54, 2.0, -v151
	;; [unrolled: 2-line block ×4, first 2 shown]
	v_sub_f16_e32 v154, v55, v154
	v_sub_f16_e32 v155, v50, v155
	v_fma_f16 v55, v55, 2.0, -v154
	v_fma_f16 v50, v50, 2.0, -v155
	v_sub_f16_e32 v156, v49, v156
	v_fma_f16 v49, v49, 2.0, -v156
	s_waitcnt vmcnt(8)
	v_mul_f16_sdwa v100, v88, v6 dst_sel:DWORD dst_unused:UNUSED_PAD src0_sel:DWORD src1_sel:WORD_1
	v_fma_f16 v157, v37, v6, v100
	s_waitcnt vmcnt(7)
	v_mul_f16_sdwa v100, v89, v108 dst_sel:DWORD dst_unused:UNUSED_PAD src0_sel:DWORD src1_sel:WORD_1
	v_fma_f16 v158, v38, v108, v100
	;; [unrolled: 3-line block ×3, first 2 shown]
	v_sub_f16_e32 v157, v51, v157
	v_sub_f16_e32 v158, v63, v158
	;; [unrolled: 1-line block ×3, first 2 shown]
	s_waitcnt vmcnt(4)
	v_mul_f16_sdwa v100, v91, v111 dst_sel:DWORD dst_unused:UNUSED_PAD src0_sel:DWORD src1_sel:WORD_1
	v_fma_f16 v160, v40, v111, v100
	s_waitcnt vmcnt(3)
	v_mul_f16_sdwa v100, v92, v112 dst_sel:DWORD dst_unused:UNUSED_PAD src0_sel:DWORD src1_sel:WORD_1
	v_fma_f16 v161, v41, v112, v100
	v_mul_f16_sdwa v100, v93, v113 dst_sel:DWORD dst_unused:UNUSED_PAD src0_sel:DWORD src1_sel:WORD_1
	v_fma_f16 v162, v42, v113, v100
	s_waitcnt vmcnt(2)
	v_mul_f16_sdwa v100, v94, v114 dst_sel:DWORD dst_unused:UNUSED_PAD src0_sel:DWORD src1_sel:WORD_1
	v_fma_f16 v163, v43, v114, v100
	s_waitcnt vmcnt(1)
	v_mul_f16_sdwa v100, v97, v115 dst_sel:DWORD dst_unused:UNUSED_PAD src0_sel:DWORD src1_sel:WORD_1
	v_fma_f16 v164, v45, v115, v100
	v_lshrrev_b16_e32 v100, 2, v25
	v_mul_u32_u24_e32 v100, 0x4925, v100
	v_lshrrev_b32_e32 v100, 17, v100
	v_mul_lo_u16_e32 v100, 28, v100
	v_sub_u16_e32 v165, v25, v100
	v_lshlrev_b32_e32 v100, 2, v165
	global_load_dword v100, v100, s[8:9] offset:96
	s_waitcnt lgkmcnt(0)
	; wave barrier
	s_waitcnt lgkmcnt(0)
	ds_write_b16 v109, v64
	ds_write_b16 v109, v149 offset:56
	v_mov_b32_e32 v149, 1
	v_mul_u32_u24_sdwa v64, v116, s4 dst_sel:DWORD dst_unused:UNUSED_PAD src0_sel:BYTE_1 src1_sel:DWORD
	v_lshlrev_b32_sdwa v116, v149, v117 dst_sel:DWORD dst_unused:UNUSED_PAD src0_sel:DWORD src1_sel:BYTE_0
	v_add3_u32 v116, 0, v64, v116
	ds_write_b16 v116, v65
	ds_write_b16 v116, v150 offset:56
	v_mul_u32_u24_sdwa v64, v118, s4 dst_sel:DWORD dst_unused:UNUSED_PAD src0_sel:BYTE_1 src1_sel:DWORD
	v_lshlrev_b32_sdwa v65, v149, v120 dst_sel:DWORD dst_unused:UNUSED_PAD src0_sel:DWORD src1_sel:BYTE_0
	v_add3_u32 v117, 0, v64, v65
	ds_write_b16 v117, v54
	ds_write_b16 v117, v151 offset:56
	;; [unrolled: 5-line block ×3, first 2 shown]
	v_mul_u32_u24_e32 v53, 0x70, v123
	v_lshlrev_b32_e32 v54, 1, v124
	v_add3_u32 v120, 0, v53, v54
	ds_write_b16 v120, v52
	ds_write_b16 v120, v153 offset:56
	v_mul_u32_u24_e32 v52, 0x70, v125
	v_lshlrev_b32_e32 v53, 1, v126
	v_add3_u32 v121, 0, v52, v53
	v_mul_u32_u24_e32 v52, 0x70, v127
	v_lshlrev_b32_e32 v53, 1, v128
	v_add3_u32 v122, 0, v52, v53
	ds_write_b16 v121, v55
	ds_write_b16 v121, v154 offset:56
	ds_write_b16 v122, v50
	ds_write_b16 v122, v155 offset:56
	v_mul_u32_u24_e32 v50, 0x70, v129
	v_lshlrev_b32_e32 v52, 1, v130
	v_add3_u32 v123, 0, v50, v52
	ds_write_b16 v123, v49
	ds_write_b16 v123, v156 offset:56
	v_mul_u32_u24_e32 v49, 0x70, v131
	v_lshlrev_b32_e32 v50, 1, v132
	v_add3_u32 v124, 0, v49, v50
	v_mul_u32_u24_e32 v49, 0x70, v133
	v_lshlrev_b32_e32 v50, 1, v134
	v_add3_u32 v125, 0, v49, v50
	v_mul_u32_u24_e32 v49, 0x70, v135
	v_lshlrev_b32_e32 v50, 1, v136
	v_add3_u32 v126, 0, v49, v50
	v_mul_u32_u24_e32 v49, 0x70, v137
	v_lshlrev_b32_e32 v50, 1, v138
	v_add3_u32 v127, 0, v49, v50
	v_mul_u32_u24_e32 v49, 0x70, v139
	v_lshlrev_b32_e32 v50, 1, v140
	v_add3_u32 v128, 0, v49, v50
	v_mul_u32_u24_e32 v49, 0x70, v141
	v_lshlrev_b32_e32 v50, 1, v142
	s_waitcnt vmcnt(1)
	v_mul_f16_sdwa v166, v98, v119 dst_sel:DWORD dst_unused:UNUSED_PAD src0_sel:DWORD src1_sel:WORD_1
	v_add3_u32 v129, 0, v49, v50
	v_mul_u32_u24_e32 v49, 0x70, v143
	v_lshlrev_b32_e32 v50, 1, v144
	v_fma_f16 v166, v46, v119, v166
	v_add3_u32 v131, 0, v49, v50
	v_mul_u32_u24_e32 v49, 0x70, v145
	v_lshlrev_b32_e32 v50, 1, v146
	v_sub_f16_e32 v160, v61, v160
	v_sub_f16_e32 v161, v60, v161
	;; [unrolled: 1-line block ×6, first 2 shown]
	v_add3_u32 v132, 0, v49, v50
	v_mul_u32_u24_e32 v49, 0x70, v147
	v_lshlrev_b32_e32 v50, 1, v148
	v_fma_f16 v51, v51, 2.0, -v157
	v_fma_f16 v63, v63, 2.0, -v158
	;; [unrolled: 1-line block ×9, first 2 shown]
	v_add3_u32 v133, 0, v49, v50
	v_lshl_add_u32 v130, v165, 1, 0
	ds_write_b16 v124, v51
	ds_write_b16 v124, v157 offset:56
	ds_write_b16 v125, v63
	ds_write_b16 v125, v158 offset:56
	;; [unrolled: 2-line block ×9, first 2 shown]
	s_and_saveexec_b64 s[2:3], s[0:1]
	s_cbranch_execz .LBB0_25
; %bb.24:
	s_waitcnt vmcnt(0)
	v_mul_f16_sdwa v49, v7, v100 dst_sel:DWORD dst_unused:UNUSED_PAD src0_sel:DWORD src1_sel:WORD_1
	v_fma_f16 v49, v2, v100, v49
	v_sub_f16_e32 v49, v30, v49
	v_fma_f16 v30, v30, 2.0, -v49
	ds_write_b16 v130, v30 offset:3808
	ds_write_b16 v130, v49 offset:3864
.LBB0_25:
	s_or_b64 exec, exec, s[2:3]
	v_mul_f16_sdwa v32, v32, v3 dst_sel:DWORD dst_unused:UNUSED_PAD src0_sel:DWORD src1_sel:WORD_1
	v_mul_f16_sdwa v30, v47, v106 dst_sel:DWORD dst_unused:UNUSED_PAD src0_sel:DWORD src1_sel:WORD_1
	;; [unrolled: 1-line block ×3, first 2 shown]
	v_fma_f16 v3, v86, v3, -v32
	v_mul_f16_sdwa v32, v44, v107 dst_sel:DWORD dst_unused:UNUSED_PAD src0_sel:DWORD src1_sel:WORD_1
	v_mul_f16_sdwa v37, v37, v6 dst_sel:DWORD dst_unused:UNUSED_PAD src0_sel:DWORD src1_sel:WORD_1
	v_fma_f16 v30, v99, v106, -v30
	v_fma_f16 v36, v81, v105, -v36
	v_mul_f16_sdwa v35, v35, v104 dst_sel:DWORD dst_unused:UNUSED_PAD src0_sel:DWORD src1_sel:WORD_1
	v_mul_f16_sdwa v34, v34, v103 dst_sel:DWORD dst_unused:UNUSED_PAD src0_sel:DWORD src1_sel:WORD_1
	v_fma_f16 v32, v95, v107, -v32
	v_fma_f16 v6, v88, v6, -v37
	v_mul_f16_sdwa v37, v38, v108 dst_sel:DWORD dst_unused:UNUSED_PAD src0_sel:DWORD src1_sel:WORD_1
	v_mul_f16_sdwa v38, v39, v110 dst_sel:DWORD dst_unused:UNUSED_PAD src0_sel:DWORD src1_sel:WORD_1
	;; [unrolled: 1-line block ×8, first 2 shown]
	v_fma_f16 v35, v82, v104, -v35
	v_fma_f16 v34, v83, v103, -v34
	v_mul_f16_sdwa v33, v33, v102 dst_sel:DWORD dst_unused:UNUSED_PAD src0_sel:DWORD src1_sel:WORD_1
	v_mul_f16_sdwa v31, v31, v101 dst_sel:DWORD dst_unused:UNUSED_PAD src0_sel:DWORD src1_sel:WORD_1
	v_fma_f16 v37, v89, v108, -v37
	v_fma_f16 v38, v90, v110, -v38
	;; [unrolled: 1-line block ×8, first 2 shown]
	v_sub_f16_e32 v81, v87, v30
	v_sub_f16_e32 v83, v96, v36
	;; [unrolled: 1-line block ×3, first 2 shown]
	v_fma_f16 v33, v84, v102, -v33
	v_fma_f16 v31, v85, v101, -v31
	v_fma_f16 v82, v87, 2.0, -v81
	v_fma_f16 v84, v96, 2.0, -v83
	v_sub_f16_e32 v85, v72, v35
	v_sub_f16_e32 v86, v70, v34
	;; [unrolled: 1-line block ×3, first 2 shown]
	v_fma_f16 v88, v66, 2.0, -v32
	v_sub_f16_e32 v89, v68, v6
	v_sub_f16_e32 v90, v80, v37
	v_sub_f16_e32 v91, v79, v38
	v_sub_f16_e32 v92, v78, v39
	v_sub_f16_e32 v93, v77, v40
	v_sub_f16_e32 v94, v76, v41
	v_sub_f16_e32 v95, v74, v42
	v_sub_f16_e32 v96, v73, v43
	v_sub_f16_e32 v97, v75, v44
	s_waitcnt lgkmcnt(0)
	; wave barrier
	s_waitcnt lgkmcnt(0)
	ds_read_u16 v30, v18
	ds_read_u16 v59, v16 offset:1232
	ds_read_u16 v49, v16 offset:1344
	ds_read_u16 v6, v19
	ds_read_u16 v35, v16
	ds_read_u16 v60, v16 offset:672
	ds_read_u16 v54, v16 offset:784
	;; [unrolled: 1-line block ×16, first 2 shown]
	ds_read_u16 v64, v22
	ds_read_u16 v3, v20
	ds_read_u16 v65, v16 offset:1120
	ds_read_u16 v41, v16 offset:1008
	ds_read_u16 v62, v16 offset:2240
	ds_read_u16 v37, v16 offset:2128
	ds_read_u16 v66, v16 offset:1680
	ds_read_u16 v43, v16 offset:1568
	ds_read_u16 v61, v16 offset:2800
	ds_read_u16 v38, v16 offset:2688
	ds_read_u16 v34, v13
	ds_read_u16 v36, v16 offset:3808
	ds_read_u16 v63, v16 offset:3360
	;; [unrolled: 1-line block ×3, first 2 shown]
	v_sub_f16_e32 v33, v69, v33
	v_sub_f16_e32 v31, v71, v31
	v_fma_f16 v72, v72, 2.0, -v85
	v_fma_f16 v70, v70, 2.0, -v86
	;; [unrolled: 1-line block ×14, first 2 shown]
	s_waitcnt lgkmcnt(0)
	; wave barrier
	s_waitcnt lgkmcnt(0)
	ds_write_b16 v109, v82
	ds_write_b16 v109, v81 offset:56
	ds_write_b16 v116, v84
	ds_write_b16 v116, v83 offset:56
	ds_write_b16 v117, v72
	ds_write_b16 v117, v85 offset:56
	ds_write_b16 v118, v70
	ds_write_b16 v118, v86 offset:56
	ds_write_b16 v120, v69
	ds_write_b16 v120, v33 offset:56
	ds_write_b16 v121, v71
	ds_write_b16 v121, v31 offset:56
	ds_write_b16 v122, v67
	ds_write_b16 v122, v87 offset:56
	ds_write_b16 v123, v88
	ds_write_b16 v123, v32 offset:56
	ds_write_b16 v124, v68
	ds_write_b16 v124, v89 offset:56
	ds_write_b16 v125, v80
	ds_write_b16 v125, v90 offset:56
	ds_write_b16 v126, v79
	ds_write_b16 v126, v91 offset:56
	ds_write_b16 v127, v78
	ds_write_b16 v127, v92 offset:56
	ds_write_b16 v128, v77
	ds_write_b16 v128, v93 offset:56
	ds_write_b16 v129, v76
	ds_write_b16 v129, v94 offset:56
	ds_write_b16 v131, v74
	ds_write_b16 v131, v95 offset:56
	ds_write_b16 v132, v73
	ds_write_b16 v132, v96 offset:56
	ds_write_b16 v133, v75
	ds_write_b16 v133, v97 offset:56
	s_and_saveexec_b64 s[2:3], s[0:1]
	s_cbranch_execz .LBB0_27
; %bb.26:
	s_waitcnt vmcnt(0)
	v_mul_f16_sdwa v2, v2, v100 dst_sel:DWORD dst_unused:UNUSED_PAD src0_sel:DWORD src1_sel:WORD_1
	v_fma_f16 v2, v7, v100, -v2
	v_sub_f16_e32 v2, v48, v2
	v_fma_f16 v7, v48, 2.0, -v2
	ds_write_b16 v130, v7 offset:3808
	ds_write_b16 v130, v2 offset:3864
.LBB0_27:
	s_or_b64 exec, exec, s[2:3]
	v_mul_u32_u24_e32 v2, 6, v14
	v_lshlrev_b32_e32 v2, 2, v2
	s_waitcnt lgkmcnt(0)
	; wave barrier
	s_waitcnt lgkmcnt(0)
	global_load_dwordx4 v[67:70], v2, s[8:9] offset:208
	global_load_dwordx2 v[83:84], v2, s[8:9] offset:224
	v_lshrrev_b16_e32 v2, 3, v9
	v_and_b32_e32 v2, 31, v2
	v_mov_b32_e32 v31, 56
	v_mul_lo_u16_e32 v2, 37, v2
	v_mul_lo_u16_sdwa v2, v2, v31 dst_sel:DWORD dst_unused:UNUSED_PAD src0_sel:BYTE_1 src1_sel:DWORD
	v_sub_u16_e32 v2, v9, v2
	v_and_b32_e32 v2, 0xff, v2
	v_mul_u32_u24_e32 v32, 6, v2
	v_lshlrev_b32_e32 v32, 2, v32
	ds_read_u16 v48, v18
	ds_read_u16 v89, v16 offset:1232
	ds_read_u16 v90, v16 offset:1344
	ds_read_u16 v33, v19
	ds_read_u16 v91, v16
	ds_read_u16 v92, v16 offset:672
	ds_read_u16 v93, v16 offset:784
	;; [unrolled: 1-line block ×8, first 2 shown]
	s_waitcnt vmcnt(2)
	ds_read_u16 v100, v16 offset:2464
	ds_read_u16 v101, v16 offset:2576
	;; [unrolled: 1-line block ×8, first 2 shown]
	ds_read_u16 v79, v22
	ds_read_u16 v7, v20
	global_load_dwordx4 v[71:74], v32, s[8:9] offset:208
	v_lshrrev_b16_e32 v75, 3, v10
	v_and_b32_e32 v75, 31, v75
	ds_read_u16 v80, v16 offset:1120
	ds_read_u16 v108, v16 offset:1008
	ds_read_u16 v81, v16 offset:2240
	ds_read_u16 v109, v16 offset:2128
	ds_read_u16 v82, v16 offset:1680
	ds_read_u16 v110, v16 offset:1568
	ds_read_u16 v111, v16 offset:2800
	ds_read_u16 v112, v16 offset:2688
	ds_read_u16 v113, v13
	ds_read_u16 v114, v16 offset:3808
	ds_read_u16 v115, v16 offset:3360
	;; [unrolled: 1-line block ×3, first 2 shown]
	global_load_dwordx2 v[85:86], v32, s[8:9] offset:224
	v_mul_lo_u16_e32 v32, 37, v75
	v_mul_lo_u16_sdwa v32, v32, v31 dst_sel:DWORD dst_unused:UNUSED_PAD src0_sel:BYTE_1 src1_sel:DWORD
	v_sub_u16_e32 v32, v10, v32
	v_and_b32_e32 v32, 0xff, v32
	v_mul_u32_u24_e32 v75, 6, v32
	v_lshrrev_b16_e32 v76, 3, v11
	v_lshlrev_b32_e32 v88, 2, v75
	v_mul_u32_u24_e32 v87, 0x2493, v76
	global_load_dwordx4 v[75:78], v88, s[8:9] offset:208
	v_mul_lo_u16_sdwa v31, v87, v31 dst_sel:DWORD dst_unused:UNUSED_PAD src0_sel:WORD_1 src1_sel:DWORD
	v_sub_u16_e32 v31, v11, v31
	s_movk_i32 s1, 0x2b26
	s_mov_b32 s0, 0xbb00
	s_mov_b32 s2, 0xbcab
	s_movk_i32 s3, 0x39e0
	s_mov_b32 s5, 0xb9e0
	s_mov_b32 s6, 0xb574
	s_movk_i32 s7, 0x3574
	s_mov_b32 s4, 0xb70e
	v_lshl_add_u32 v2, v2, 1, 0
	s_waitcnt vmcnt(4) lgkmcnt(13)
	v_mul_f16_sdwa v117, v79, v67 dst_sel:DWORD dst_unused:UNUSED_PAD src0_sel:DWORD src1_sel:WORD_1
	v_mul_f16_sdwa v118, v64, v67 dst_sel:DWORD dst_unused:UNUSED_PAD src0_sel:DWORD src1_sel:WORD_1
	s_waitcnt lgkmcnt(11)
	v_mul_f16_sdwa v119, v80, v68 dst_sel:DWORD dst_unused:UNUSED_PAD src0_sel:DWORD src1_sel:WORD_1
	v_mul_f16_sdwa v122, v66, v69 dst_sel:DWORD dst_unused:UNUSED_PAD src0_sel:DWORD src1_sel:WORD_1
	v_fma_f16 v64, v64, v67, v117
	v_fma_f16 v117, v79, v67, -v118
	v_mul_u32_u24_e32 v79, 6, v31
	v_mul_f16_sdwa v120, v65, v68 dst_sel:DWORD dst_unused:UNUSED_PAD src0_sel:DWORD src1_sel:WORD_1
	v_mul_f16_sdwa v124, v62, v70 dst_sel:DWORD dst_unused:UNUSED_PAD src0_sel:DWORD src1_sel:WORD_1
	v_fma_f16 v65, v65, v68, v119
	s_waitcnt lgkmcnt(7)
	v_fma_f16 v119, v82, v69, -v122
	v_lshlrev_b32_e32 v122, 2, v79
	v_mul_f16_sdwa v121, v82, v69 dst_sel:DWORD dst_unused:UNUSED_PAD src0_sel:DWORD src1_sel:WORD_1
	v_mul_f16_sdwa v123, v81, v70 dst_sel:DWORD dst_unused:UNUSED_PAD src0_sel:DWORD src1_sel:WORD_1
	v_fma_f16 v118, v80, v68, -v120
	v_fma_f16 v120, v81, v70, -v124
	global_load_dwordx4 v[79:82], v122, s[8:9] offset:208
	s_waitcnt vmcnt(4) lgkmcnt(5)
	v_mul_f16_sdwa v125, v111, v83 dst_sel:DWORD dst_unused:UNUSED_PAD src0_sel:DWORD src1_sel:WORD_1
	global_load_dwordx2 v[87:88], v88, s[8:9] offset:224
	v_fma_f16 v66, v66, v69, v121
	v_fma_f16 v121, v61, v83, v125
	v_mul_f16_sdwa v61, v61, v83 dst_sel:DWORD dst_unused:UNUSED_PAD src0_sel:DWORD src1_sel:WORD_1
	v_fma_f16 v61, v111, v83, -v61
	s_waitcnt lgkmcnt(1)
	v_mul_f16_sdwa v111, v115, v84 dst_sel:DWORD dst_unused:UNUSED_PAD src0_sel:DWORD src1_sel:WORD_1
	v_fma_f16 v111, v63, v84, v111
	v_mul_f16_sdwa v63, v63, v84 dst_sel:DWORD dst_unused:UNUSED_PAD src0_sel:DWORD src1_sel:WORD_1
	v_fma_f16 v63, v115, v84, -v63
	v_mul_f16_sdwa v115, v92, v67 dst_sel:DWORD dst_unused:UNUSED_PAD src0_sel:DWORD src1_sel:WORD_1
	v_fma_f16 v115, v60, v67, v115
	v_mul_f16_sdwa v60, v60, v67 dst_sel:DWORD dst_unused:UNUSED_PAD src0_sel:DWORD src1_sel:WORD_1
	v_fma_f16 v67, v92, v67, -v60
	v_mul_f16_sdwa v60, v89, v68 dst_sel:DWORD dst_unused:UNUSED_PAD src0_sel:DWORD src1_sel:WORD_1
	v_fma_f16 v92, v59, v68, v60
	v_mul_f16_sdwa v59, v59, v68 dst_sel:DWORD dst_unused:UNUSED_PAD src0_sel:DWORD src1_sel:WORD_1
	v_fma_f16 v68, v89, v68, -v59
	global_load_dwordx2 v[59:60], v122, s[8:9] offset:224
	v_mul_f16_sdwa v89, v96, v69 dst_sel:DWORD dst_unused:UNUSED_PAD src0_sel:DWORD src1_sel:WORD_1
	v_fma_f16 v89, v58, v69, v89
	v_mul_f16_sdwa v58, v58, v69 dst_sel:DWORD dst_unused:UNUSED_PAD src0_sel:DWORD src1_sel:WORD_1
	v_fma_f16 v58, v96, v69, -v58
	v_mul_f16_sdwa v69, v99, v70 dst_sel:DWORD dst_unused:UNUSED_PAD src0_sel:DWORD src1_sel:WORD_1
	v_fma_f16 v69, v57, v70, v69
	v_mul_f16_sdwa v57, v57, v70 dst_sel:DWORD dst_unused:UNUSED_PAD src0_sel:DWORD src1_sel:WORD_1
	v_fma_f16 v62, v62, v70, v123
	v_fma_f16 v57, v99, v70, -v57
	v_mul_f16_sdwa v70, v102, v83 dst_sel:DWORD dst_unused:UNUSED_PAD src0_sel:DWORD src1_sel:WORD_1
	v_fma_f16 v70, v56, v83, v70
	v_mul_f16_sdwa v56, v56, v83 dst_sel:DWORD dst_unused:UNUSED_PAD src0_sel:DWORD src1_sel:WORD_1
	v_fma_f16 v56, v102, v83, -v56
	v_mul_f16_sdwa v83, v105, v84 dst_sel:DWORD dst_unused:UNUSED_PAD src0_sel:DWORD src1_sel:WORD_1
	v_fma_f16 v83, v55, v84, v83
	v_mul_f16_sdwa v55, v55, v84 dst_sel:DWORD dst_unused:UNUSED_PAD src0_sel:DWORD src1_sel:WORD_1
	v_fma_f16 v55, v105, v84, -v55
	s_waitcnt vmcnt(5)
	v_mul_f16_sdwa v84, v93, v71 dst_sel:DWORD dst_unused:UNUSED_PAD src0_sel:DWORD src1_sel:WORD_1
	v_fma_f16 v84, v54, v71, v84
	v_mul_f16_sdwa v54, v54, v71 dst_sel:DWORD dst_unused:UNUSED_PAD src0_sel:DWORD src1_sel:WORD_1
	v_fma_f16 v54, v93, v71, -v54
	v_mul_f16_sdwa v71, v90, v72 dst_sel:DWORD dst_unused:UNUSED_PAD src0_sel:DWORD src1_sel:WORD_1
	v_fma_f16 v71, v49, v72, v71
	v_mul_f16_sdwa v49, v49, v72 dst_sel:DWORD dst_unused:UNUSED_PAD src0_sel:DWORD src1_sel:WORD_1
	v_fma_f16 v49, v90, v72, -v49
	;; [unrolled: 4-line block ×4, first 2 shown]
	s_waitcnt vmcnt(4)
	v_mul_f16_sdwa v74, v103, v85 dst_sel:DWORD dst_unused:UNUSED_PAD src0_sel:DWORD src1_sel:WORD_1
	v_fma_f16 v74, v51, v85, v74
	v_mul_f16_sdwa v51, v51, v85 dst_sel:DWORD dst_unused:UNUSED_PAD src0_sel:DWORD src1_sel:WORD_1
	v_fma_f16 v51, v103, v85, -v51
	v_mul_f16_sdwa v85, v106, v86 dst_sel:DWORD dst_unused:UNUSED_PAD src0_sel:DWORD src1_sel:WORD_1
	v_fma_f16 v85, v50, v86, v85
	v_mul_f16_sdwa v50, v50, v86 dst_sel:DWORD dst_unused:UNUSED_PAD src0_sel:DWORD src1_sel:WORD_1
	v_fma_f16 v50, v106, v86, -v50
	s_waitcnt vmcnt(3)
	v_mul_f16_sdwa v86, v94, v75 dst_sel:DWORD dst_unused:UNUSED_PAD src0_sel:DWORD src1_sel:WORD_1
	v_fma_f16 v86, v47, v75, v86
	v_mul_f16_sdwa v47, v47, v75 dst_sel:DWORD dst_unused:UNUSED_PAD src0_sel:DWORD src1_sel:WORD_1
	v_fma_f16 v47, v94, v75, -v47
	v_mul_f16_sdwa v75, v95, v76 dst_sel:DWORD dst_unused:UNUSED_PAD src0_sel:DWORD src1_sel:WORD_1
	v_fma_f16 v75, v46, v76, v75
	v_mul_f16_sdwa v46, v46, v76 dst_sel:DWORD dst_unused:UNUSED_PAD src0_sel:DWORD src1_sel:WORD_1
	v_fma_f16 v46, v95, v76, -v46
	;; [unrolled: 4-line block ×4, first 2 shown]
	v_add_f16_e32 v90, v117, v63
	v_add_f16_e32 v93, v65, v121
	;; [unrolled: 1-line block ×3, first 2 shown]
	v_sub_f16_e32 v63, v117, v63
	v_sub_f16_e32 v65, v65, v121
	s_waitcnt vmcnt(1)
	v_mul_f16_sdwa v78, v104, v87 dst_sel:DWORD dst_unused:UNUSED_PAD src0_sel:DWORD src1_sel:WORD_1
	v_fma_f16 v78, v42, v87, v78
	v_mul_f16_sdwa v42, v42, v87 dst_sel:DWORD dst_unused:UNUSED_PAD src0_sel:DWORD src1_sel:WORD_1
	v_fma_f16 v42, v104, v87, -v42
	v_mul_f16_sdwa v87, v107, v88 dst_sel:DWORD dst_unused:UNUSED_PAD src0_sel:DWORD src1_sel:WORD_1
	v_fma_f16 v87, v40, v88, v87
	v_mul_f16_sdwa v40, v40, v88 dst_sel:DWORD dst_unused:UNUSED_PAD src0_sel:DWORD src1_sel:WORD_1
	v_fma_f16 v40, v107, v88, -v40
	v_mul_f16_sdwa v88, v108, v79 dst_sel:DWORD dst_unused:UNUSED_PAD src0_sel:DWORD src1_sel:WORD_1
	v_fma_f16 v88, v41, v79, v88
	v_mul_f16_sdwa v41, v41, v79 dst_sel:DWORD dst_unused:UNUSED_PAD src0_sel:DWORD src1_sel:WORD_1
	v_fma_f16 v41, v108, v79, -v41
	v_mul_f16_sdwa v79, v110, v80 dst_sel:DWORD dst_unused:UNUSED_PAD src0_sel:DWORD src1_sel:WORD_1
	v_fma_f16 v79, v43, v80, v79
	v_mul_f16_sdwa v43, v43, v80 dst_sel:DWORD dst_unused:UNUSED_PAD src0_sel:DWORD src1_sel:WORD_1
	v_fma_f16 v43, v110, v80, -v43
	v_mul_f16_sdwa v80, v109, v81 dst_sel:DWORD dst_unused:UNUSED_PAD src0_sel:DWORD src1_sel:WORD_1
	v_fma_f16 v80, v37, v81, v80
	v_mul_f16_sdwa v37, v37, v81 dst_sel:DWORD dst_unused:UNUSED_PAD src0_sel:DWORD src1_sel:WORD_1
	v_fma_f16 v37, v109, v81, -v37
	v_mul_f16_sdwa v81, v112, v82 dst_sel:DWORD dst_unused:UNUSED_PAD src0_sel:DWORD src1_sel:WORD_1
	v_fma_f16 v81, v38, v82, v81
	v_mul_f16_sdwa v38, v38, v82 dst_sel:DWORD dst_unused:UNUSED_PAD src0_sel:DWORD src1_sel:WORD_1
	v_fma_f16 v38, v112, v82, -v38
	s_waitcnt vmcnt(0) lgkmcnt(0)
	v_mul_f16_sdwa v82, v116, v59 dst_sel:DWORD dst_unused:UNUSED_PAD src0_sel:DWORD src1_sel:WORD_1
	v_fma_f16 v82, v39, v59, v82
	v_mul_f16_sdwa v39, v39, v59 dst_sel:DWORD dst_unused:UNUSED_PAD src0_sel:DWORD src1_sel:WORD_1
	v_fma_f16 v39, v116, v59, -v39
	v_mul_f16_sdwa v59, v114, v60 dst_sel:DWORD dst_unused:UNUSED_PAD src0_sel:DWORD src1_sel:WORD_1
	v_fma_f16 v59, v36, v60, v59
	v_mul_f16_sdwa v36, v36, v60 dst_sel:DWORD dst_unused:UNUSED_PAD src0_sel:DWORD src1_sel:WORD_1
	v_fma_f16 v36, v114, v60, -v36
	v_add_f16_e32 v60, v64, v111
	v_sub_f16_e32 v64, v64, v111
	v_sub_f16_e32 v61, v118, v61
	v_add_f16_e32 v95, v66, v62
	v_add_f16_e32 v96, v119, v120
	v_sub_f16_e32 v62, v62, v66
	v_sub_f16_e32 v66, v120, v119
	v_add_f16_e32 v97, v93, v60
	v_add_f16_e32 v98, v94, v90
	v_sub_f16_e32 v99, v93, v60
	v_sub_f16_e32 v100, v94, v90
	v_sub_f16_e32 v60, v60, v95
	v_sub_f16_e32 v90, v90, v96
	v_sub_f16_e32 v93, v95, v93
	v_sub_f16_e32 v94, v96, v94
	v_add_f16_e32 v101, v62, v65
	v_add_f16_e32 v102, v66, v61
	v_sub_f16_e32 v103, v62, v65
	v_sub_f16_e32 v104, v66, v61
	v_sub_f16_e32 v65, v65, v64
	v_sub_f16_e32 v61, v61, v63
	v_add_f16_e32 v95, v95, v97
	v_add_f16_e32 v96, v96, v98
	v_sub_f16_e32 v62, v64, v62
	v_sub_f16_e32 v66, v63, v66
	v_add_f16_e32 v64, v101, v64
	v_add_f16_e32 v63, v102, v63
	;; [unrolled: 1-line block ×4, first 2 shown]
	v_mul_f16_e32 v60, 0x3a52, v60
	v_mul_f16_e32 v90, 0x3a52, v90
	;; [unrolled: 1-line block ×8, first 2 shown]
	v_fma_f16 v95, v95, s2, v35
	v_fma_f16 v96, v96, s2, v91
	;; [unrolled: 1-line block ×4, first 2 shown]
	v_fma_f16 v97, v99, s3, -v97
	v_fma_f16 v98, v100, s3, -v98
	;; [unrolled: 1-line block ×4, first 2 shown]
	v_fma_f16 v99, v62, s6, v101
	v_fma_f16 v100, v66, s6, v102
	v_fma_f16 v65, v65, s0, -v101
	v_fma_f16 v61, v61, s0, -v102
	;; [unrolled: 1-line block ×4, first 2 shown]
	v_add_f16_e32 v93, v93, v95
	v_add_f16_e32 v94, v94, v96
	;; [unrolled: 1-line block ×6, first 2 shown]
	v_fma_f16 v95, v64, s4, v99
	v_fma_f16 v96, v63, s4, v100
	;; [unrolled: 1-line block ×6, first 2 shown]
	v_add_f16_e32 v64, v96, v93
	v_sub_f16_e32 v66, v94, v95
	v_add_f16_e32 v99, v63, v60
	v_sub_f16_e32 v100, v90, v62
	v_sub_f16_e32 v101, v97, v61
	v_add_f16_e32 v102, v65, v98
	v_add_f16_e32 v61, v61, v97
	v_sub_f16_e32 v97, v98, v65
	v_sub_f16_e32 v60, v60, v63
	v_add_f16_e32 v90, v62, v90
	v_sub_f16_e32 v62, v93, v96
	v_add_f16_e32 v93, v95, v94
	v_add_f16_e32 v63, v115, v83
	;; [unrolled: 1-line block ×3, first 2 shown]
	v_sub_f16_e32 v55, v67, v55
	v_add_f16_e32 v67, v92, v70
	v_add_f16_e32 v94, v68, v56
	v_sub_f16_e32 v83, v115, v83
	v_sub_f16_e32 v70, v92, v70
	;; [unrolled: 1-line block ×3, first 2 shown]
	v_add_f16_e32 v68, v89, v69
	v_add_f16_e32 v92, v58, v57
	v_sub_f16_e32 v69, v69, v89
	v_sub_f16_e32 v57, v57, v58
	v_add_f16_e32 v58, v67, v63
	v_add_f16_e32 v89, v94, v65
	v_sub_f16_e32 v95, v67, v63
	v_sub_f16_e32 v96, v94, v65
	;; [unrolled: 1-line block ×6, first 2 shown]
	v_add_f16_e32 v98, v69, v70
	v_add_f16_e32 v103, v57, v56
	v_sub_f16_e32 v104, v69, v70
	v_sub_f16_e32 v105, v57, v56
	;; [unrolled: 1-line block ×4, first 2 shown]
	v_add_f16_e32 v58, v68, v58
	v_add_f16_e32 v68, v92, v89
	v_sub_f16_e32 v69, v83, v69
	v_sub_f16_e32 v57, v55, v57
	v_add_f16_e32 v83, v98, v83
	v_add_f16_e32 v55, v103, v55
	;; [unrolled: 1-line block ×4, first 2 shown]
	v_mul_f16_e32 v63, 0x3a52, v63
	v_mul_f16_e32 v65, 0x3a52, v65
	;; [unrolled: 1-line block ×8, first 2 shown]
	v_fma_f16 v58, v58, s2, v34
	v_fma_f16 v68, v68, s2, v89
	;; [unrolled: 1-line block ×4, first 2 shown]
	v_fma_f16 v92, v95, s3, -v92
	v_fma_f16 v98, v96, s3, -v98
	;; [unrolled: 1-line block ×4, first 2 shown]
	v_fma_f16 v95, v69, s6, v103
	v_fma_f16 v96, v57, s6, v104
	v_fma_f16 v56, v56, s0, -v104
	v_fma_f16 v69, v69, s7, -v105
	;; [unrolled: 1-line block ×4, first 2 shown]
	v_add_f16_e32 v67, v67, v58
	v_add_f16_e32 v94, v94, v68
	v_add_f16_e32 v92, v92, v58
	v_add_f16_e32 v98, v98, v68
	v_add_f16_e32 v58, v63, v58
	v_add_f16_e32 v63, v65, v68
	v_fma_f16 v65, v83, s4, v95
	v_fma_f16 v68, v55, s4, v96
	;; [unrolled: 1-line block ×6, first 2 shown]
	v_add_f16_e32 v57, v68, v67
	v_sub_f16_e32 v83, v94, v65
	v_add_f16_e32 v95, v55, v58
	v_sub_f16_e32 v96, v63, v69
	v_sub_f16_e32 v55, v58, v55
	v_add_f16_e32 v69, v69, v63
	v_sub_f16_e32 v58, v67, v68
	v_add_f16_e32 v67, v65, v94
	v_add_f16_e32 v63, v84, v85
	;; [unrolled: 1-line block ×3, first 2 shown]
	v_sub_f16_e32 v68, v84, v85
	v_sub_f16_e32 v50, v54, v50
	v_add_f16_e32 v54, v71, v74
	v_add_f16_e32 v84, v49, v51
	v_sub_f16_e32 v71, v71, v74
	v_sub_f16_e32 v49, v49, v51
	v_add_f16_e32 v51, v72, v73
	v_add_f16_e32 v74, v53, v52
	;; [unrolled: 4-line block ×3, first 2 shown]
	v_sub_f16_e32 v103, v92, v56
	v_add_f16_e32 v104, v70, v98
	v_add_f16_e32 v56, v56, v92
	v_sub_f16_e32 v70, v98, v70
	v_sub_f16_e32 v85, v54, v63
	;; [unrolled: 1-line block ×7, first 2 shown]
	v_add_f16_e32 v94, v72, v71
	v_add_f16_e32 v98, v52, v49
	v_sub_f16_e32 v105, v72, v71
	v_sub_f16_e32 v106, v52, v49
	;; [unrolled: 1-line block ×4, first 2 shown]
	v_add_f16_e32 v51, v51, v53
	v_add_f16_e32 v53, v74, v73
	v_sub_f16_e32 v72, v68, v72
	v_sub_f16_e32 v52, v50, v52
	v_add_f16_e32 v68, v94, v68
	v_add_f16_e32 v50, v98, v50
	;; [unrolled: 1-line block ×4, first 2 shown]
	v_mul_f16_e32 v48, 0x3a52, v63
	v_mul_f16_e32 v63, 0x3a52, v65
	;; [unrolled: 1-line block ×8, first 2 shown]
	v_fma_f16 v51, v51, s2, v30
	v_fma_f16 v53, v53, s2, v73
	;; [unrolled: 1-line block ×4, first 2 shown]
	v_fma_f16 v65, v85, s3, -v65
	v_fma_f16 v74, v92, s3, -v74
	;; [unrolled: 1-line block ×4, first 2 shown]
	v_fma_f16 v85, v72, s6, v94
	v_fma_f16 v92, v52, s6, v98
	v_fma_f16 v71, v71, s0, -v94
	v_fma_f16 v49, v49, s0, -v98
	;; [unrolled: 1-line block ×4, first 2 shown]
	v_add_f16_e32 v54, v54, v51
	v_add_f16_e32 v84, v84, v53
	;; [unrolled: 1-line block ×6, first 2 shown]
	v_fma_f16 v53, v68, s4, v85
	v_fma_f16 v63, v50, s4, v92
	;; [unrolled: 1-line block ×6, first 2 shown]
	v_add_f16_e32 v52, v63, v54
	v_sub_f16_e32 v72, v84, v53
	v_add_f16_e32 v85, v50, v48
	v_sub_f16_e32 v92, v51, v68
	v_add_f16_e32 v98, v71, v74
	v_sub_f16_e32 v71, v74, v71
	v_sub_f16_e32 v48, v48, v50
	v_add_f16_e32 v68, v68, v51
	v_sub_f16_e32 v50, v54, v63
	v_add_f16_e32 v74, v53, v84
	v_add_f16_e32 v51, v86, v87
	;; [unrolled: 1-line block ×3, first 2 shown]
	v_sub_f16_e32 v40, v47, v40
	v_add_f16_e32 v47, v75, v78
	v_add_f16_e32 v63, v46, v42
	v_sub_f16_e32 v94, v65, v49
	v_add_f16_e32 v49, v49, v65
	v_sub_f16_e32 v54, v86, v87
	v_sub_f16_e32 v65, v75, v78
	;; [unrolled: 1-line block ×3, first 2 shown]
	v_add_f16_e32 v46, v76, v77
	v_add_f16_e32 v75, v45, v44
	v_sub_f16_e32 v76, v77, v76
	v_sub_f16_e32 v44, v44, v45
	v_add_f16_e32 v45, v47, v51
	v_add_f16_e32 v77, v63, v53
	v_sub_f16_e32 v78, v47, v51
	v_sub_f16_e32 v84, v63, v53
	;; [unrolled: 1-line block ×6, first 2 shown]
	v_add_f16_e32 v86, v76, v65
	v_add_f16_e32 v87, v44, v42
	v_sub_f16_e32 v105, v76, v65
	v_sub_f16_e32 v106, v44, v42
	;; [unrolled: 1-line block ×4, first 2 shown]
	v_add_f16_e32 v45, v46, v45
	v_add_f16_e32 v46, v75, v77
	v_sub_f16_e32 v76, v54, v76
	v_sub_f16_e32 v44, v40, v44
	v_add_f16_e32 v54, v86, v54
	v_add_f16_e32 v40, v87, v40
	;; [unrolled: 1-line block ×4, first 2 shown]
	v_mul_f16_e32 v33, 0x3a52, v51
	v_mul_f16_e32 v51, 0x3a52, v53
	;; [unrolled: 1-line block ×8, first 2 shown]
	v_fma_f16 v45, v45, s2, v6
	v_fma_f16 v46, v46, s2, v75
	;; [unrolled: 1-line block ×4, first 2 shown]
	v_fma_f16 v53, v78, s3, -v53
	v_fma_f16 v77, v84, s3, -v77
	;; [unrolled: 1-line block ×4, first 2 shown]
	v_fma_f16 v78, v76, s6, v86
	v_fma_f16 v84, v44, s6, v87
	v_fma_f16 v65, v65, s0, -v86
	v_fma_f16 v42, v42, s0, -v87
	;; [unrolled: 1-line block ×4, first 2 shown]
	v_add_f16_e32 v47, v47, v45
	v_add_f16_e32 v63, v63, v46
	;; [unrolled: 1-line block ×6, first 2 shown]
	v_fma_f16 v46, v54, s4, v78
	v_fma_f16 v51, v40, s4, v84
	;; [unrolled: 1-line block ×6, first 2 shown]
	v_add_f16_e32 v44, v51, v47
	v_add_f16_e32 v78, v40, v33
	v_sub_f16_e32 v84, v45, v54
	v_sub_f16_e32 v86, v53, v42
	v_add_f16_e32 v42, v42, v53
	v_sub_f16_e32 v33, v33, v40
	v_add_f16_e32 v105, v54, v45
	;; [unrolled: 2-line block ×3, first 2 shown]
	v_add_f16_e32 v47, v41, v36
	v_sub_f16_e32 v36, v41, v36
	v_add_f16_e32 v41, v79, v82
	v_add_f16_e32 v53, v43, v39
	;; [unrolled: 1-line block ×3, first 2 shown]
	v_sub_f16_e32 v77, v77, v65
	v_sub_f16_e32 v51, v88, v59
	;; [unrolled: 1-line block ×3, first 2 shown]
	v_add_f16_e32 v43, v80, v81
	v_add_f16_e32 v59, v37, v38
	v_sub_f16_e32 v37, v38, v37
	v_add_f16_e32 v38, v41, v45
	v_add_f16_e32 v65, v53, v47
	v_sub_f16_e32 v76, v63, v46
	v_add_f16_e32 v46, v46, v63
	v_sub_f16_e32 v54, v79, v82
	v_sub_f16_e32 v63, v81, v80
	;; [unrolled: 1-line block ×8, first 2 shown]
	v_add_f16_e32 v82, v37, v39
	v_sub_f16_e32 v106, v37, v39
	v_sub_f16_e32 v39, v39, v36
	v_add_f16_e32 v38, v43, v38
	v_add_f16_e32 v43, v59, v65
	;; [unrolled: 1-line block ×3, first 2 shown]
	v_sub_f16_e32 v88, v63, v54
	v_sub_f16_e32 v37, v36, v37
	;; [unrolled: 1-line block ×3, first 2 shown]
	v_add_f16_e32 v36, v82, v36
	v_add_f16_e32 v3, v3, v38
	;; [unrolled: 1-line block ×3, first 2 shown]
	v_mul_f16_e32 v45, 0x3a52, v45
	v_mul_f16_e32 v47, 0x3a52, v47
	v_mul_f16_e32 v59, 0x2b26, v41
	v_mul_f16_e32 v65, 0x2b26, v53
	v_mul_f16_e32 v82, 0x3846, v106
	v_mul_f16_e32 v106, 0xbb00, v39
	v_sub_f16_e32 v63, v51, v63
	v_add_f16_e32 v51, v81, v51
	v_mul_f16_e32 v81, 0x3846, v88
	v_mul_f16_e32 v88, 0xbb00, v54
	v_fma_f16 v38, v38, s2, v3
	v_fma_f16 v43, v43, s2, v7
	;; [unrolled: 1-line block ×4, first 2 shown]
	v_fma_f16 v59, v79, s3, -v59
	v_fma_f16 v65, v80, s3, -v65
	;; [unrolled: 1-line block ×4, first 2 shown]
	v_fma_f16 v80, v37, s6, v82
	v_fma_f16 v39, v39, s0, -v82
	v_fma_f16 v37, v37, s7, -v106
	v_fma_f16 v79, v63, s6, v81
	v_fma_f16 v54, v54, s0, -v81
	v_fma_f16 v63, v63, s7, -v88
	v_add_f16_e32 v41, v41, v38
	v_add_f16_e32 v53, v53, v43
	;; [unrolled: 1-line block ×6, first 2 shown]
	v_fma_f16 v47, v36, s4, v80
	v_fma_f16 v39, v36, s4, v39
	;; [unrolled: 1-line block ×3, first 2 shown]
	s_waitcnt lgkmcnt(0)
	; wave barrier
	ds_write_b16 v16, v35
	ds_write_b16 v16, v64 offset:112
	ds_write_b16 v16, v99 offset:224
	ds_write_b16 v16, v101 offset:336
	ds_write_b16 v16, v61 offset:448
	ds_write_b16 v16, v60 offset:560
	ds_write_b16 v16, v62 offset:672
	ds_write_b16 v16, v34 offset:784
	ds_write_b16 v1, v57
	ds_write_b16 v16, v95 offset:1008
	ds_write_b16 v16, v103 offset:1120
	;; [unrolled: 1-line block ×12, first 2 shown]
	v_lshl_add_u32 v85, v32, 1, 0
	v_fma_f16 v45, v51, s4, v79
	v_fma_f16 v54, v51, s4, v54
	;; [unrolled: 1-line block ×3, first 2 shown]
	v_add_f16_e32 v37, v47, v41
	v_add_f16_e32 v63, v36, v38
	v_sub_f16_e32 v81, v59, v39
	v_add_f16_e32 v39, v39, v59
	v_sub_f16_e32 v36, v38, v36
	v_sub_f16_e32 v38, v41, v47
	ds_write_b16 v85, v6 offset:2352
	ds_write_b16 v85, v44 offset:2464
	;; [unrolled: 1-line block ×7, first 2 shown]
	v_lshl_add_u32 v6, v31, 1, 0
	v_sub_f16_e32 v79, v53, v45
	v_sub_f16_e32 v80, v43, v51
	v_add_f16_e32 v82, v54, v65
	v_sub_f16_e32 v88, v65, v54
	v_add_f16_e32 v106, v51, v43
	v_add_f16_e32 v107, v45, v53
	ds_write_b16 v6, v3 offset:3136
	ds_write_b16 v6, v37 offset:3248
	;; [unrolled: 1-line block ×7, first 2 shown]
	s_waitcnt lgkmcnt(0)
	; wave barrier
	s_waitcnt lgkmcnt(0)
	ds_read_u16 v36, v16 offset:2464
	ds_read_u16 v37, v16 offset:3248
	ds_read_u16 v41, v16 offset:3360
	ds_read_u16 v40, v18
	ds_read_u16 v45, v19
	;; [unrolled: 1-line block ×5, first 2 shown]
	ds_read_u16 v39, v16 offset:896
	ds_read_u16 v43, v16 offset:1008
	;; [unrolled: 1-line block ×17, first 2 shown]
	ds_read_u16 v33, v28
	ds_read_u16 v54, v29
	ds_read_u16 v31, v16 offset:1568
	ds_read_u16 v55, v16 offset:1456
	;; [unrolled: 1-line block ×6, first 2 shown]
	ds_read_u16 v35, v13
	ds_read_u16 v65, v16 offset:3808
	s_waitcnt lgkmcnt(0)
	; wave barrier
	s_waitcnt lgkmcnt(0)
	ds_write_b16 v16, v91
	ds_write_b16 v16, v66 offset:112
	ds_write_b16 v16, v100 offset:224
	;; [unrolled: 1-line block ×7, first 2 shown]
	ds_write_b16 v1, v83
	ds_write_b16 v16, v96 offset:1008
	ds_write_b16 v16, v104 offset:1120
	ds_write_b16 v16, v70 offset:1232
	ds_write_b16 v16, v69 offset:1344
	ds_write_b16 v16, v67 offset:1456
	ds_write_b16 v2, v73 offset:1568
	ds_write_b16 v2, v72 offset:1680
	ds_write_b16 v2, v92 offset:1792
	ds_write_b16 v2, v98 offset:1904
	ds_write_b16 v2, v71 offset:2016
	ds_write_b16 v2, v68 offset:2128
	ds_write_b16 v2, v74 offset:2240
	ds_write_b16 v85, v75 offset:2352
	ds_write_b16 v85, v76 offset:2464
	ds_write_b16 v85, v84 offset:2576
	ds_write_b16 v85, v87 offset:2688
	ds_write_b16 v85, v77 offset:2800
	ds_write_b16 v85, v105 offset:2912
	ds_write_b16 v85, v46 offset:3024
	ds_write_b16 v6, v7 offset:3136
	ds_write_b16 v6, v79 offset:3248
	ds_write_b16 v6, v80 offset:3360
	ds_write_b16 v6, v82 offset:3472
	ds_write_b16 v6, v88 offset:3584
	ds_write_b16 v6, v106 offset:3696
	ds_write_b16 v6, v107 offset:3808
	s_waitcnt lgkmcnt(0)
	; wave barrier
	s_waitcnt lgkmcnt(0)
	s_and_saveexec_b64 s[0:1], vcc
	s_cbranch_execz .LBB0_29
; %bb.28:
	v_lshlrev_b32_e32 v6, 2, v0
	v_mov_b32_e32 v7, 0
	v_lshlrev_b64 v[0:1], 2, v[6:7]
	v_mov_b32_e32 v46, s9
	v_add_co_u32_e32 v0, vcc, s8, v0
	v_addc_co_u32_e32 v1, vcc, v46, v1, vcc
	global_load_dwordx4 v[0:3], v[0:1], off offset:1552
	v_lshlrev_b32_e32 v12, 2, v12
	ds_read_u16 v29, v29
	ds_read_u16 v72, v16 offset:2464
	ds_read_u16 v73, v16 offset:2352
	;; [unrolled: 1-line block ×4, first 2 shown]
	ds_read_u16 v78, v20
	ds_read_u16 v79, v19
	;; [unrolled: 1-line block ×4, first 2 shown]
	ds_read_u16 v18, v16 offset:3808
	ds_read_u16 v80, v16 offset:3696
	ds_read_u16 v84, v16 offset:3360
	ds_read_u16 v85, v16 offset:3248
	ds_read_u16 v86, v16 offset:3136
	v_mov_b32_e32 v13, v7
	v_lshlrev_b64 v[12:13], 2, v[12:13]
	v_lshlrev_b32_e32 v11, 2, v11
	v_add_co_u32_e32 v12, vcc, s8, v12
	v_addc_co_u32_e32 v13, vcc, v46, v13, vcc
	global_load_dwordx4 v[66:69], v[12:13], off offset:1552
	ds_read_u16 v12, v16 offset:3024
	ds_read_u16 v81, v16 offset:2912
	ds_read_u16 v87, v22
	ds_read_u16 v88, v28
	ds_read_u16 v89, v16 offset:1568
	ds_read_u16 v19, v16 offset:1456
	;; [unrolled: 1-line block ×3, first 2 shown]
	s_mov_b32 s0, 0xbb9c
	s_movk_i32 s3, 0x3b9c
	s_mov_b32 s1, 0xb8b4
	s_movk_i32 s4, 0x38b4
	s_movk_i32 s2, 0x34f2
	v_lshlrev_b32_e32 v10, 2, v10
	v_lshlrev_b32_e32 v9, 2, v9
	;; [unrolled: 1-line block ×4, first 2 shown]
	s_waitcnt vmcnt(1)
	v_mul_f16_sdwa v13, v55, v0 dst_sel:DWORD dst_unused:UNUSED_PAD src0_sel:DWORD src1_sel:WORD_1
	v_mul_f16_sdwa v20, v58, v1 dst_sel:DWORD dst_unused:UNUSED_PAD src0_sel:DWORD src1_sel:WORD_1
	;; [unrolled: 1-line block ×4, first 2 shown]
	s_waitcnt lgkmcnt(14)
	v_mul_f16_sdwa v76, v70, v1 dst_sel:DWORD dst_unused:UNUSED_PAD src0_sel:DWORD src1_sel:WORD_1
	s_waitcnt lgkmcnt(6)
	v_mul_f16_sdwa v77, v12, v2 dst_sel:DWORD dst_unused:UNUSED_PAD src0_sel:DWORD src1_sel:WORD_1
	s_waitcnt lgkmcnt(1)
	v_fma_f16 v91, v0, v19, -v13
	v_fma_f16 v70, v1, v70, -v20
	;; [unrolled: 1-line block ×4, first 2 shown]
	v_fma_f16 v58, v58, v1, v76
	v_fma_f16 v64, v64, v2, v77
	v_mul_f16_sdwa v75, v18, v3 dst_sel:DWORD dst_unused:UNUSED_PAD src0_sel:DWORD src1_sel:WORD_1
	v_add_f16_e32 v2, v70, v12
	v_add_f16_e32 v18, v58, v64
	v_add_f16_e32 v77, v91, v22
	v_fma_f16 v93, v2, -0.5, v29
	v_fma_f16 v95, v18, -0.5, v54
	;; [unrolled: 1-line block ×3, first 2 shown]
	v_add_f16_e32 v29, v91, v29
	v_mul_f16_sdwa v74, v19, v0 dst_sel:DWORD dst_unused:UNUSED_PAD src0_sel:DWORD src1_sel:WORD_1
	v_add_f16_e32 v29, v70, v29
	v_fma_f16 v28, v55, v0, v74
	v_sub_f16_e32 v1, v22, v12
	v_sub_f16_e32 v74, v70, v12
	;; [unrolled: 1-line block ×3, first 2 shown]
	v_add_f16_e32 v12, v12, v29
	v_fma_f16 v55, v65, v3, v75
	v_sub_f16_e32 v65, v91, v22
	v_add_f16_e32 v22, v22, v12
	v_add_f16_e32 v12, v54, v28
	v_sub_f16_e32 v3, v28, v58
	v_sub_f16_e32 v13, v55, v64
	;; [unrolled: 1-line block ×3, first 2 shown]
	v_add_f16_e32 v12, v12, v58
	v_add_f16_e32 v94, v3, v13
	;; [unrolled: 1-line block ×3, first 2 shown]
	v_sub_f16_e32 v3, v58, v28
	v_sub_f16_e32 v75, v64, v55
	v_add_f16_e32 v12, v12, v64
	v_sub_f16_e32 v19, v28, v55
	v_add_f16_e32 v75, v3, v75
	v_add_f16_e32 v3, v28, v55
	;; [unrolled: 1-line block ×3, first 2 shown]
	s_waitcnt vmcnt(0)
	v_mul_f16_sdwa v12, v48, v66 dst_sel:DWORD dst_unused:UNUSED_PAD src0_sel:DWORD src1_sel:WORD_1
	v_sub_f16_e32 v20, v58, v64
	ds_read_u16 v64, v16 offset:1232
	s_waitcnt lgkmcnt(1)
	v_fma_f16 v58, v66, v90, -v12
	v_mov_b32_e32 v12, v7
	v_fma_f16 v2, v20, s3, v18
	v_fma_f16 v18, v20, s0, v18
	v_lshlrev_b64 v[11:12], 2, v[11:12]
	v_sub_f16_e32 v0, v91, v70
	v_fma_f16 v2, v19, s1, v2
	v_fma_f16 v76, v3, -0.5, v54
	v_fma_f16 v18, v19, s4, v18
	v_add_f16_e32 v92, v0, v1
	v_fma_f16 v0, v19, s0, v93
	v_fma_f16 v2, v13, s2, v2
	;; [unrolled: 1-line block ×6, first 2 shown]
	v_add_co_u32_e32 v11, vcc, s8, v11
	v_fma_f16 v1, v65, s3, v95
	v_fma_f16 v0, v20, s1, v0
	;; [unrolled: 1-line block ×6, first 2 shown]
	v_addc_co_u32_e32 v12, vcc, v46, v12, vcc
	v_fma_f16 v1, v74, s4, v1
	v_fma_f16 v3, v75, s2, v3
	;; [unrolled: 1-line block ×4, first 2 shown]
	v_mul_f16_sdwa v29, v47, v67 dst_sel:DWORD dst_unused:UNUSED_PAD src0_sel:DWORD src1_sel:WORD_1
	global_load_dwordx4 v[74:77], v[11:12], off offset:1552
	v_fma_f16 v11, v67, v71, -v29
	v_mul_f16_sdwa v29, v50, v69 dst_sel:DWORD dst_unused:UNUSED_PAD src0_sel:DWORD src1_sel:WORD_1
	v_fma_f16 v70, v69, v80, -v29
	v_mul_f16_sdwa v29, v49, v68 dst_sel:DWORD dst_unused:UNUSED_PAD src0_sel:DWORD src1_sel:WORD_1
	v_fma_f16 v93, v68, v81, -v29
	v_sub_f16_e32 v12, v58, v11
	v_sub_f16_e32 v29, v70, v93
	v_add_f16_e32 v54, v12, v29
	v_add_f16_e32 v12, v11, v93
	v_fma_f16 v55, v12, -0.5, v87
	v_mul_f16_sdwa v12, v90, v66 dst_sel:DWORD dst_unused:UNUSED_PAD src0_sel:DWORD src1_sel:WORD_1
	v_mul_f16_sdwa v29, v71, v67 dst_sel:DWORD dst_unused:UNUSED_PAD src0_sel:DWORD src1_sel:WORD_1
	v_fma_f16 v66, v48, v66, v12
	v_mul_f16_sdwa v12, v80, v69 dst_sel:DWORD dst_unused:UNUSED_PAD src0_sel:DWORD src1_sel:WORD_1
	v_fma_f16 v67, v47, v67, v29
	;; [unrolled: 2-line block ×3, first 2 shown]
	v_fma_f16 v81, v49, v68, v29
	v_sub_f16_e32 v29, v66, v67
	v_sub_f16_e32 v47, v80, v81
	v_add_f16_e32 v71, v29, v47
	v_sub_f16_e32 v47, v11, v58
	v_sub_f16_e32 v48, v93, v70
	v_fma_f16 v1, v94, s2, v1
	v_fma_f16 v20, v94, s2, v20
	v_sub_f16_e32 v94, v58, v70
	v_add_f16_e32 v49, v47, v48
	v_add_f16_e32 v47, v58, v70
	;; [unrolled: 1-line block ×3, first 2 shown]
	v_sub_f16_e32 v95, v11, v93
	v_add_f16_e32 v11, v11, v58
	v_add_f16_e32 v11, v93, v11
	v_sub_f16_e32 v69, v66, v80
	v_add_f16_e32 v58, v70, v11
	v_mov_b32_e32 v11, v7
	v_fma_f16 v12, v69, s0, v55
	v_sub_f16_e32 v68, v67, v81
	v_add_f16_e32 v29, v67, v81
	v_fma_f16 v55, v69, s3, v55
	v_lshlrev_b64 v[10:11], 2, v[10:11]
	v_fma_f16 v12, v68, s1, v12
	v_fma_f16 v90, v29, -0.5, v63
	v_fma_f16 v55, v68, s4, v55
	v_fma_f16 v12, v54, s2, v12
	;; [unrolled: 1-line block ×3, first 2 shown]
	v_fma_f16 v50, v47, -0.5, v87
	v_fma_f16 v54, v54, s2, v55
	v_fma_f16 v55, v94, s0, v90
	v_add_co_u32_e32 v10, vcc, s8, v10
	v_fma_f16 v29, v95, s4, v29
	v_fma_f16 v47, v68, s3, v50
	;; [unrolled: 1-line block ×4, first 2 shown]
	v_addc_co_u32_e32 v11, vcc, v46, v11, vcc
	v_fma_f16 v29, v71, s2, v29
	v_fma_f16 v47, v69, s1, v47
	;; [unrolled: 1-line block ×4, first 2 shown]
	global_load_dwordx4 v[68:71], v[10:11], off offset:1552
	ds_read_u16 v91, v16 offset:3584
	v_sub_f16_e32 v48, v67, v66
	v_sub_f16_e32 v96, v81, v80
	v_fma_f16 v0, v92, s2, v0
	v_fma_f16 v19, v92, s2, v19
	ds_read_u16 v92, v16 offset:2800
	ds_read_u16 v93, v16 offset:2688
	;; [unrolled: 1-line block ×3, first 2 shown]
	v_add_f16_e32 v96, v48, v96
	v_add_f16_e32 v48, v66, v80
	v_fma_f16 v97, v48, -0.5, v63
	v_add_f16_e32 v63, v63, v66
	v_add_f16_e32 v10, v63, v67
	v_add_f16_e32 v10, v10, v81
	v_fma_f16 v47, v49, s2, v47
	v_fma_f16 v48, v95, s0, v97
	;; [unrolled: 1-line block ×4, first 2 shown]
	s_waitcnt vmcnt(1)
	v_mul_f16_sdwa v66, v62, v77 dst_sel:DWORD dst_unused:UNUSED_PAD src0_sel:DWORD src1_sel:WORD_1
	v_add_f16_e32 v11, v80, v10
	v_mul_f16_sdwa v10, v60, v74 dst_sel:DWORD dst_unused:UNUSED_PAD src0_sel:DWORD src1_sel:WORD_1
	v_mul_f16_sdwa v63, v59, v75 dst_sel:DWORD dst_unused:UNUSED_PAD src0_sel:DWORD src1_sel:WORD_1
	s_waitcnt lgkmcnt(3)
	v_fma_f16 v90, v77, v91, -v66
	v_mul_f16_sdwa v66, v61, v76 dst_sel:DWORD dst_unused:UNUSED_PAD src0_sel:DWORD src1_sel:WORD_1
	v_fma_f16 v48, v94, s4, v48
	v_fma_f16 v50, v94, s1, v50
	ds_read_u16 v80, v16 offset:1120
	v_fma_f16 v10, v74, v64, -v10
	ds_read_u16 v81, v16 offset:1904
	s_waitcnt lgkmcnt(2)
	v_fma_f16 v67, v75, v65, -v63
	v_fma_f16 v94, v76, v92, -v66
	v_sub_f16_e32 v63, v10, v67
	v_sub_f16_e32 v66, v90, v94
	v_add_f16_e32 v66, v63, v66
	v_add_f16_e32 v63, v67, v94
	v_fma_f16 v95, v63, -0.5, v78
	v_mul_f16_sdwa v63, v64, v74 dst_sel:DWORD dst_unused:UNUSED_PAD src0_sel:DWORD src1_sel:WORD_1
	v_fma_f16 v74, v60, v74, v63
	v_mul_f16_sdwa v60, v91, v77 dst_sel:DWORD dst_unused:UNUSED_PAD src0_sel:DWORD src1_sel:WORD_1
	v_fma_f16 v77, v62, v77, v60
	v_mul_f16_sdwa v62, v65, v75 dst_sel:DWORD dst_unused:UNUSED_PAD src0_sel:DWORD src1_sel:WORD_1
	v_fma_f16 v75, v59, v75, v62
	v_mul_f16_sdwa v59, v92, v76 dst_sel:DWORD dst_unused:UNUSED_PAD src0_sel:DWORD src1_sel:WORD_1
	v_sub_f16_e32 v91, v74, v77
	v_fma_f16 v76, v61, v76, v59
	v_fma_f16 v60, v91, s0, v95
	v_sub_f16_e32 v65, v75, v76
	v_fma_f16 v59, v65, s1, v60
	v_sub_f16_e32 v60, v74, v75
	v_sub_f16_e32 v61, v77, v76
	v_add_f16_e32 v92, v60, v61
	v_sub_f16_e32 v61, v67, v10
	v_sub_f16_e32 v62, v94, v90
	;; [unrolled: 1-line block ×3, first 2 shown]
	v_add_f16_e32 v63, v61, v62
	v_add_f16_e32 v61, v10, v90
	;; [unrolled: 1-line block ×5, first 2 shown]
	v_sub_f16_e32 v98, v67, v94
	v_add_f16_e32 v67, v90, v10
	v_add_f16_e32 v10, v57, v74
	v_sub_f16_e32 v62, v75, v74
	v_sub_f16_e32 v99, v76, v77
	v_add_f16_e32 v10, v10, v75
	v_add_f16_e32 v60, v75, v76
	;; [unrolled: 1-line block ×5, first 2 shown]
	v_fma_f16 v48, v96, s2, v48
	v_fma_f16 v50, v96, s2, v50
	v_fma_f16 v96, v60, -0.5, v57
	v_fma_f16 v100, v62, -0.5, v57
	v_add_f16_e32 v57, v77, v10
	v_fma_f16 v64, v61, -0.5, v78
	ds_read_u16 v90, v16 offset:1008
	v_fma_f16 v61, v65, s3, v64
	v_fma_f16 v64, v65, s0, v64
	ds_read_u16 v87, v16 offset:3472
	s_waitcnt vmcnt(0)
	v_mul_f16_sdwa v10, v52, v68 dst_sel:DWORD dst_unused:UNUSED_PAD src0_sel:DWORD src1_sel:WORD_1
	s_waitcnt lgkmcnt(3)
	v_fma_f16 v78, v68, v80, -v10
	v_mov_b32_e32 v10, v7
	v_lshlrev_b64 v[9:10], 2, v[9:10]
	v_fma_f16 v61, v91, s1, v61
	v_add_co_u32_e32 v9, vcc, s8, v9
	v_addc_co_u32_e32 v10, vcc, v46, v10, vcc
	global_load_dwordx4 v[74:77], v[9:10], off offset:1552
	v_fma_f16 v64, v91, s4, v64
	v_fma_f16 v91, v91, s3, v95
	ds_read_u16 v95, v16 offset:2576
	v_fma_f16 v65, v65, s4, v91
	v_fma_f16 v59, v66, s2, v59
	;; [unrolled: 1-line block ×9, first 2 shown]
	v_mul_f16_sdwa v9, v51, v69 dst_sel:DWORD dst_unused:UNUSED_PAD src0_sel:DWORD src1_sel:WORD_1
	v_mul_f16_sdwa v92, v56, v71 dst_sel:DWORD dst_unused:UNUSED_PAD src0_sel:DWORD src1_sel:WORD_1
	;; [unrolled: 1-line block ×3, first 2 shown]
	ds_read_u16 v91, v16 offset:1792
	s_waitcnt lgkmcnt(4)
	v_fma_f16 v9, v69, v81, -v9
	s_waitcnt lgkmcnt(2)
	v_fma_f16 v92, v71, v87, -v92
	v_fma_f16 v94, v70, v93, -v94
	v_sub_f16_e32 v10, v78, v9
	v_sub_f16_e32 v96, v92, v94
	v_fma_f16 v61, v63, s2, v61
	v_fma_f16 v62, v98, s0, v100
	;; [unrolled: 1-line block ×4, first 2 shown]
	v_add_f16_e32 v96, v10, v96
	v_add_f16_e32 v10, v9, v94
	v_fma_f16 v62, v97, s4, v62
	v_fma_f16 v64, v97, s1, v64
	v_fma_f16 v97, v10, -0.5, v79
	v_mul_f16_sdwa v10, v80, v68 dst_sel:DWORD dst_unused:UNUSED_PAD src0_sel:DWORD src1_sel:WORD_1
	v_fma_f16 v80, v52, v68, v10
	v_mul_f16_sdwa v52, v81, v69 dst_sel:DWORD dst_unused:UNUSED_PAD src0_sel:DWORD src1_sel:WORD_1
	v_mul_f16_sdwa v10, v87, v71 dst_sel:DWORD dst_unused:UNUSED_PAD src0_sel:DWORD src1_sel:WORD_1
	v_fma_f16 v81, v51, v69, v52
	v_mul_f16_sdwa v51, v93, v70 dst_sel:DWORD dst_unused:UNUSED_PAD src0_sel:DWORD src1_sel:WORD_1
	v_fma_f16 v87, v56, v71, v10
	v_fma_f16 v93, v53, v70, v51
	v_sub_f16_e32 v51, v80, v81
	v_sub_f16_e32 v52, v87, v93
	v_add_f16_e32 v70, v51, v52
	v_sub_f16_e32 v52, v9, v78
	v_sub_f16_e32 v53, v94, v92
	v_add_f16_e32 v56, v52, v53
	v_add_f16_e32 v52, v78, v92
	v_sub_f16_e32 v69, v81, v93
	v_fma_f16 v68, v52, -0.5, v79
	v_sub_f16_e32 v71, v80, v87
	v_add_f16_e32 v51, v81, v93
	v_fma_f16 v52, v69, s3, v68
	v_fma_f16 v68, v69, s0, v68
	;; [unrolled: 1-line block ×5, first 2 shown]
	v_fma_f16 v98, v51, -0.5, v45
	v_sub_f16_e32 v99, v78, v92
	v_fma_f16 v52, v71, s1, v52
	v_fma_f16 v68, v71, s4, v68
	;; [unrolled: 1-line block ×5, first 2 shown]
	v_sub_f16_e32 v100, v9, v94
	v_fma_f16 v69, v69, s4, v71
	v_fma_f16 v71, v99, s0, v98
	;; [unrolled: 1-line block ×6, first 2 shown]
	v_add_f16_e32 v71, v78, v79
	v_add_f16_e32 v9, v9, v71
	;; [unrolled: 1-line block ×4, first 2 shown]
	ds_read_u16 v92, v16 offset:1680
	v_add_f16_e32 v9, v45, v80
	v_sub_f16_e32 v53, v81, v80
	v_sub_f16_e32 v101, v93, v87
	v_add_f16_e32 v9, v9, v81
	v_add_f16_e32 v101, v53, v101
	;; [unrolled: 1-line block ×4, first 2 shown]
	v_fma_f16 v102, v53, -0.5, v45
	v_add_f16_e32 v45, v87, v9
	v_mov_b32_e32 v9, v7
	v_lshlrev_b64 v[8:9], 2, v[8:9]
	v_fma_f16 v10, v96, s2, v10
	v_add_co_u32_e32 v8, vcc, s8, v8
	v_addc_co_u32_e32 v9, vcc, v46, v9, vcc
	v_fma_f16 v69, v96, s2, v69
	global_load_dwordx4 v[78:81], v[8:9], off offset:1552
	s_waitcnt vmcnt(1)
	v_mul_f16_sdwa v8, v43, v74 dst_sel:DWORD dst_unused:UNUSED_PAD src0_sel:DWORD src1_sel:WORD_1
	v_mul_f16_sdwa v9, v42, v75 dst_sel:DWORD dst_unused:UNUSED_PAD src0_sel:DWORD src1_sel:WORD_1
	;; [unrolled: 1-line block ×4, first 2 shown]
	ds_read_u16 v87, v16 offset:896
	v_fma_f16 v8, v74, v90, -v8
	s_waitcnt lgkmcnt(2)
	v_fma_f16 v9, v75, v91, -v9
	v_fma_f16 v94, v77, v84, -v94
	;; [unrolled: 1-line block ×3, first 2 shown]
	v_mul_f16_sdwa v90, v90, v74 dst_sel:DWORD dst_unused:UNUSED_PAD src0_sel:DWORD src1_sel:WORD_1
	v_sub_f16_e32 v93, v8, v9
	v_sub_f16_e32 v97, v94, v96
	v_fma_f16 v43, v43, v74, v90
	v_mul_f16_sdwa v74, v84, v77 dst_sel:DWORD dst_unused:UNUSED_PAD src0_sel:DWORD src1_sel:WORD_1
	v_mul_f16_sdwa v84, v91, v75 dst_sel:DWORD dst_unused:UNUSED_PAD src0_sel:DWORD src1_sel:WORD_1
	v_fma_f16 v52, v56, s2, v52
	v_fma_f16 v53, v100, s0, v102
	v_fma_f16 v56, v56, s2, v68
	v_fma_f16 v68, v100, s3, v102
	v_add_f16_e32 v93, v93, v97
	v_add_f16_e32 v97, v9, v96
	v_fma_f16 v41, v41, v77, v74
	v_fma_f16 v42, v42, v75, v84
	v_mul_f16_sdwa v75, v95, v76 dst_sel:DWORD dst_unused:UNUSED_PAD src0_sel:DWORD src1_sel:WORD_1
	v_fma_f16 v53, v99, s4, v53
	v_fma_f16 v68, v99, s1, v68
	v_fma_f16 v97, v97, -0.5, v82
	v_sub_f16_e32 v74, v43, v41
	v_fma_f16 v44, v44, v76, v75
	v_sub_f16_e32 v98, v9, v8
	v_sub_f16_e32 v99, v96, v94
	v_fma_f16 v77, v74, s0, v97
	v_sub_f16_e32 v75, v42, v44
	v_add_f16_e32 v98, v98, v99
	v_add_f16_e32 v99, v8, v94
	v_fma_f16 v76, v75, s1, v77
	v_sub_f16_e32 v77, v43, v42
	v_sub_f16_e32 v84, v41, v44
	v_fma_f16 v99, v99, -0.5, v82
	v_add_f16_e32 v77, v77, v84
	v_add_f16_e32 v84, v42, v44
	v_fma_f16 v100, v75, s3, v99
	v_fma_f16 v99, v75, s0, v99
	v_lshlrev_b64 v[6:7], 2, v[6:7]
	v_fma_f16 v84, v84, -0.5, v40
	v_sub_f16_e32 v90, v8, v94
	v_fma_f16 v100, v74, s1, v100
	v_fma_f16 v99, v74, s4, v99
	;; [unrolled: 1-line block ×4, first 2 shown]
	v_sub_f16_e32 v95, v9, v96
	v_fma_f16 v74, v75, s4, v74
	v_fma_f16 v75, v90, s0, v84
	v_add_co_u32_e32 v6, vcc, s8, v6
	v_fma_f16 v91, v95, s4, v91
	v_fma_f16 v75, v95, s1, v75
	v_add_f16_e32 v8, v8, v82
	v_addc_co_u32_e32 v7, vcc, v46, v7, vcc
	v_fma_f16 v91, v77, s2, v91
	v_fma_f16 v75, v77, s2, v75
	v_add_f16_e32 v77, v9, v8
	global_load_dwordx4 v[6:9], v[6:7], off offset:1552
	v_fma_f16 v53, v101, s2, v53
	v_fma_f16 v68, v101, s2, v68
	v_sub_f16_e32 v101, v42, v43
	v_sub_f16_e32 v102, v44, v41
	v_add_f16_e32 v101, v101, v102
	v_add_f16_e32 v102, v43, v41
	v_fma_f16 v102, v102, -0.5, v40
	v_add_f16_e32 v40, v40, v43
	v_add_f16_e32 v40, v40, v42
	;; [unrolled: 1-line block ×5, first 2 shown]
	v_fma_f16 v100, v98, s2, v100
	v_fma_f16 v103, v95, s0, v102
	;; [unrolled: 1-line block ×3, first 2 shown]
	s_waitcnt vmcnt(1)
	v_mul_f16_sdwa v41, v39, v78 dst_sel:DWORD dst_unused:UNUSED_PAD src0_sel:DWORD src1_sel:WORD_1
	v_mul_f16_sdwa v42, v38, v79 dst_sel:DWORD dst_unused:UNUSED_PAD src0_sel:DWORD src1_sel:WORD_1
	v_mul_f16_sdwa v44, v37, v81 dst_sel:DWORD dst_unused:UNUSED_PAD src0_sel:DWORD src1_sel:WORD_1
	v_mul_f16_sdwa v77, v36, v80 dst_sel:DWORD dst_unused:UNUSED_PAD src0_sel:DWORD src1_sel:WORD_1
	s_waitcnt lgkmcnt(0)
	v_fma_f16 v41, v78, v87, -v41
	v_fma_f16 v42, v79, v92, -v42
	;; [unrolled: 1-line block ×4, first 2 shown]
	v_mul_f16_sdwa v84, v87, v78 dst_sel:DWORD dst_unused:UNUSED_PAD src0_sel:DWORD src1_sel:WORD_1
	v_sub_f16_e32 v43, v41, v42
	v_sub_f16_e32 v82, v44, v77
	v_fma_f16 v39, v39, v78, v84
	v_mul_f16_sdwa v78, v85, v81 dst_sel:DWORD dst_unused:UNUSED_PAD src0_sel:DWORD src1_sel:WORD_1
	v_add_f16_e32 v43, v43, v82
	v_add_f16_e32 v82, v42, v77
	v_fma_f16 v37, v37, v81, v78
	v_mul_f16_sdwa v84, v92, v79 dst_sel:DWORD dst_unused:UNUSED_PAD src0_sel:DWORD src1_sel:WORD_1
	v_mul_f16_sdwa v72, v72, v80 dst_sel:DWORD dst_unused:UNUSED_PAD src0_sel:DWORD src1_sel:WORD_1
	v_fma_f16 v82, v82, -0.5, v83
	v_sub_f16_e32 v78, v39, v37
	v_fma_f16 v38, v38, v79, v84
	v_fma_f16 v36, v36, v80, v72
	;; [unrolled: 1-line block ×3, first 2 shown]
	v_sub_f16_e32 v72, v38, v36
	v_fma_f16 v99, v95, s3, v102
	v_add_f16_e32 v46, v94, v46
	v_fma_f16 v79, v72, s1, v81
	v_sub_f16_e32 v80, v39, v38
	v_sub_f16_e32 v81, v37, v36
	;; [unrolled: 1-line block ×4, first 2 shown]
	v_add_f16_e32 v80, v80, v81
	v_add_f16_e32 v81, v38, v36
	;; [unrolled: 1-line block ×4, first 2 shown]
	v_fma_f16 v81, v81, -0.5, v35
	v_fma_f16 v95, v95, -0.5, v35
	v_add_f16_e32 v35, v35, v39
	v_fma_f16 v103, v90, s4, v103
	v_fma_f16 v99, v90, s1, v99
	v_sub_f16_e32 v90, v42, v41
	v_sub_f16_e32 v92, v77, v44
	v_add_f16_e32 v35, v35, v38
	ds_read_u16 v16, v16
	v_sub_f16_e32 v84, v41, v44
	v_add_f16_e32 v90, v90, v92
	v_add_f16_e32 v92, v41, v44
	;; [unrolled: 1-line block ×4, first 2 shown]
	v_sub_f16_e32 v87, v42, v77
	v_fma_f16 v92, v92, -0.5, v83
	v_add_f16_e32 v41, v42, v41
	v_add_f16_e32 v35, v37, v35
	v_fma_f16 v76, v93, s2, v76
	v_fma_f16 v74, v93, s2, v74
	;; [unrolled: 1-line block ×4, first 2 shown]
	v_add_f16_e32 v41, v77, v41
	v_fma_f16 v93, v78, s1, v93
	v_fma_f16 v92, v78, s4, v92
	;; [unrolled: 1-line block ×3, first 2 shown]
	v_add_f16_e32 v41, v44, v41
	v_fma_f16 v72, v72, s4, v78
	v_fma_f16 v79, v43, s2, v79
	s_waitcnt vmcnt(0)
	v_mul_f16_sdwa v36, v33, v6 dst_sel:DWORD dst_unused:UNUSED_PAD src0_sel:DWORD src1_sel:WORD_1
	v_mul_f16_sdwa v37, v31, v7 dst_sel:DWORD dst_unused:UNUSED_PAD src0_sel:DWORD src1_sel:WORD_1
	;; [unrolled: 1-line block ×4, first 2 shown]
	v_fma_f16 v36, v6, v88, -v36
	v_fma_f16 v37, v7, v89, -v37
	;; [unrolled: 1-line block ×4, first 2 shown]
	v_mul_f16_sdwa v77, v88, v6 dst_sel:DWORD dst_unused:UNUSED_PAD src0_sel:DWORD src1_sel:WORD_1
	v_sub_f16_e32 v38, v36, v37
	v_sub_f16_e32 v44, v39, v42
	v_fma_f16 v33, v33, v6, v77
	v_mul_f16_sdwa v6, v86, v9 dst_sel:DWORD dst_unused:UNUSED_PAD src0_sel:DWORD src1_sel:WORD_1
	v_mul_f16_sdwa v77, v89, v7 dst_sel:DWORD dst_unused:UNUSED_PAD src0_sel:DWORD src1_sel:WORD_1
	v_add_f16_e32 v38, v38, v44
	v_add_f16_e32 v44, v37, v42
	v_fma_f16 v9, v34, v9, v6
	v_fma_f16 v31, v31, v7, v77
	v_mul_f16_sdwa v7, v73, v8 dst_sel:DWORD dst_unused:UNUSED_PAD src0_sel:DWORD src1_sel:WORD_1
	v_fma_f16 v85, v84, s3, v81
	v_fma_f16 v43, v43, s2, v72
	;; [unrolled: 1-line block ×3, first 2 shown]
	s_waitcnt lgkmcnt(0)
	v_fma_f16 v44, v44, -0.5, v16
	v_sub_f16_e32 v6, v33, v9
	v_fma_f16 v32, v32, v8, v7
	v_sub_f16_e32 v81, v37, v36
	v_sub_f16_e32 v82, v42, v39
	v_fma_f16 v34, v6, s0, v44
	v_sub_f16_e32 v7, v31, v32
	v_add_f16_e32 v81, v81, v82
	v_add_f16_e32 v82, v36, v39
	v_fma_f16 v8, v7, s1, v34
	v_fma_f16 v82, v82, -0.5, v16
	v_fma_f16 v34, v38, s2, v8
	v_sub_f16_e32 v8, v33, v31
	v_sub_f16_e32 v73, v9, v32
	v_fma_f16 v83, v7, s3, v82
	v_fma_f16 v82, v7, s0, v82
	;; [unrolled: 1-line block ×6, first 2 shown]
	v_add_f16_e32 v8, v8, v73
	v_add_f16_e32 v73, v31, v32
	v_fma_f16 v83, v6, s1, v83
	v_fma_f16 v82, v6, s4, v82
	;; [unrolled: 1-line block ×7, first 2 shown]
	v_fma_f16 v73, v73, -0.5, v30
	v_sub_f16_e32 v77, v36, v39
	v_sub_f16_e32 v84, v31, v33
	;; [unrolled: 1-line block ×3, first 2 shown]
	v_fma_f16 v6, v7, s4, v6
	v_fma_f16 v85, v80, s2, v85
	;; [unrolled: 1-line block ×3, first 2 shown]
	v_sub_f16_e32 v80, v37, v42
	v_add_f16_e32 v84, v84, v86
	v_add_f16_e32 v86, v33, v9
	v_fma_f16 v38, v38, s2, v6
	v_fma_f16 v6, v77, s0, v73
	;; [unrolled: 1-line block ×3, first 2 shown]
	v_fma_f16 v86, v86, -0.5, v30
	v_fma_f16 v6, v80, s1, v6
	v_fma_f16 v78, v80, s4, v78
	;; [unrolled: 1-line block ×6, first 2 shown]
	v_add_f16_e32 v6, v36, v16
	v_fma_f16 v78, v8, s2, v78
	v_fma_f16 v87, v80, s0, v86
	;; [unrolled: 1-line block ×3, first 2 shown]
	v_add_f16_e32 v8, v37, v6
	v_mad_u64_u32 v[6:7], s[0:1], s12, v14, 0
	v_add_f16_e32 v8, v42, v8
	v_add_f16_e32 v16, v39, v8
	;; [unrolled: 1-line block ×3, first 2 shown]
	v_mad_u64_u32 v[7:8], s[0:1], s13, v14, v[7:8]
	v_add_f16_e32 v8, v30, v31
	v_add_f16_e32 v8, v8, v32
	v_add_u32_e32 v31, 0x188, v14
	v_add_f16_e32 v32, v9, v8
	v_mad_u64_u32 v[8:9], s[0:1], s12, v31, 0
	v_mov_b32_e32 v30, s15
	v_add_co_u32_e32 v4, vcc, s14, v4
	v_addc_co_u32_e32 v5, vcc, v30, v5, vcc
	v_lshlrev_b64 v[6:7], 2, v[6:7]
	v_mad_u64_u32 v[30:31], s[0:1], s13, v31, v[9:10]
	v_add_co_u32_e32 v6, vcc, v4, v6
	v_addc_co_u32_e32 v7, vcc, v5, v7, vcc
	v_pack_b32_f16 v9, v32, v16
	global_store_dword v[6:7], v9, off
	v_mov_b32_e32 v9, v30
	v_lshlrev_b64 v[6:7], 2, v[8:9]
	v_mad_u64_u32 v[8:9], s[0:1], s12, v26, 0
	v_add_co_u32_e32 v6, vcc, v4, v6
	v_mad_u64_u32 v[30:31], s[0:1], s13, v26, v[9:10]
	v_add_u32_e32 v26, 0x498, v14
	v_mad_u64_u32 v[31:32], s[0:1], s12, v26, 0
	v_addc_co_u32_e32 v7, vcc, v5, v7, vcc
	v_pack_b32_f16 v16, v44, v38
	v_mov_b32_e32 v9, v30
	global_store_dword v[6:7], v16, off
	v_lshlrev_b64 v[6:7], 2, v[8:9]
	v_mov_b32_e32 v8, v32
	v_mad_u64_u32 v[8:9], s[0:1], s13, v26, v[8:9]
	v_fma_f16 v82, v84, s2, v82
	v_add_co_u32_e32 v6, vcc, v4, v6
	v_addc_co_u32_e32 v7, vcc, v5, v7, vcc
	v_pack_b32_f16 v9, v82, v81
	v_add_u32_e32 v16, 0x620, v14
	global_store_dword v[6:7], v9, off
	v_mov_b32_e32 v32, v8
	v_mad_u64_u32 v[8:9], s[0:1], s12, v16, 0
	v_lshlrev_b64 v[6:7], 2, v[31:32]
	v_fma_f16 v87, v77, s4, v87
	v_mad_u64_u32 v[30:31], s[0:1], s13, v16, v[9:10]
	v_fma_f16 v87, v84, s2, v87
	v_add_co_u32_e32 v6, vcc, v4, v6
	v_addc_co_u32_e32 v7, vcc, v5, v7, vcc
	v_pack_b32_f16 v9, v87, v83
	global_store_dword v[6:7], v9, off
	v_mov_b32_e32 v9, v30
	v_fma_f16 v103, v101, s2, v103
	v_fma_f16 v99, v101, s2, v99
	;; [unrolled: 1-line block ×4, first 2 shown]
	v_lshlrev_b64 v[6:7], 2, v[8:9]
	v_mad_u64_u32 v[8:9], s[2:3], s12, v15, 0
	v_add_co_u32_e32 v6, vcc, v4, v6
	v_mad_u64_u32 v[15:16], s[2:3], s13, v15, v[9:10]
	v_or_b32_e32 v16, 0x1c0, v14
	v_mad_u64_u32 v[30:31], s[2:3], s12, v16, 0
	v_addc_co_u32_e32 v7, vcc, v5, v7, vcc
	v_pack_b32_f16 v26, v78, v34
	v_mov_b32_e32 v9, v15
	global_store_dword v[6:7], v26, off
	v_lshlrev_b64 v[6:7], 2, v[8:9]
	v_mov_b32_e32 v8, v31
	v_mad_u64_u32 v[8:9], s[2:3], s13, v16, v[8:9]
	v_add_co_u32_e32 v6, vcc, v4, v6
	v_addc_co_u32_e32 v7, vcc, v5, v7, vcc
	v_pack_b32_f16 v9, v35, v41
	global_store_dword v[6:7], v9, off
	v_mov_b32_e32 v31, v8
	v_mad_u64_u32 v[8:9], s[2:3], s12, v24, 0
	v_lshlrev_b64 v[6:7], 2, v[30:31]
	v_pack_b32_f16 v26, v72, v43
	v_mad_u64_u32 v[15:16], s[2:3], s13, v24, v[9:10]
	v_add_u32_e32 v16, 0x4d0, v14
	v_mad_u64_u32 v[30:31], s[2:3], s12, v16, 0
	v_add_co_u32_e32 v6, vcc, v4, v6
	v_addc_co_u32_e32 v7, vcc, v5, v7, vcc
	v_mov_b32_e32 v9, v15
	global_store_dword v[6:7], v26, off
	v_lshlrev_b64 v[6:7], 2, v[8:9]
	v_mov_b32_e32 v8, v31
	v_mad_u64_u32 v[8:9], s[2:3], s13, v16, v[8:9]
	v_add_co_u32_e32 v6, vcc, v4, v6
	v_addc_co_u32_e32 v7, vcc, v5, v7, vcc
	v_pack_b32_f16 v9, v92, v90
	v_add_u32_e32 v15, 0x658, v14
	global_store_dword v[6:7], v9, off
	v_mov_b32_e32 v31, v8
	v_mad_u64_u32 v[8:9], s[2:3], s12, v15, 0
	v_lshlrev_b64 v[6:7], 2, v[30:31]
	v_pack_b32_f16 v24, v96, v93
	v_mad_u64_u32 v[15:16], s[2:3], s13, v15, v[9:10]
	v_add_u32_e32 v16, 0x70, v14
	v_mad_u64_u32 v[30:31], s[2:3], s12, v16, 0
	v_add_co_u32_e32 v6, vcc, v4, v6
	v_addc_co_u32_e32 v7, vcc, v5, v7, vcc
	v_mov_b32_e32 v9, v15
	global_store_dword v[6:7], v24, off
	v_lshlrev_b64 v[6:7], 2, v[8:9]
	v_mov_b32_e32 v8, v31
	v_mad_u64_u32 v[8:9], s[2:3], s13, v16, v[8:9]
	v_add_co_u32_e32 v6, vcc, v4, v6
	v_addc_co_u32_e32 v7, vcc, v5, v7, vcc
	v_pack_b32_f16 v9, v85, v79
	global_store_dword v[6:7], v9, off
	v_mov_b32_e32 v31, v8
	v_mad_u64_u32 v[8:9], s[2:3], s12, v23, 0
	v_lshlrev_b64 v[6:7], 2, v[30:31]
	v_pack_b32_f16 v26, v40, v46
	v_mad_u64_u32 v[15:16], s[2:3], s13, v23, v[9:10]
	v_mad_u64_u32 v[23:24], s[2:3], s12, v27, 0
	v_add_co_u32_e32 v6, vcc, v4, v6
	v_addc_co_u32_e32 v7, vcc, v5, v7, vcc
	v_mov_b32_e32 v9, v15
	global_store_dword v[6:7], v26, off
	v_lshlrev_b64 v[6:7], 2, v[8:9]
	v_mov_b32_e32 v8, v24
	v_mad_u64_u32 v[8:9], s[2:3], s13, v27, v[8:9]
	v_add_co_u32_e32 v6, vcc, v4, v6
	v_addc_co_u32_e32 v7, vcc, v5, v7, vcc
	v_pack_b32_f16 v9, v75, v74
	v_add_u32_e32 v15, 0x508, v14
	global_store_dword v[6:7], v9, off
	v_mov_b32_e32 v24, v8
	v_mad_u64_u32 v[8:9], s[2:3], s12, v15, 0
	v_lshlrev_b64 v[6:7], 2, v[23:24]
	v_pack_b32_f16 v26, v99, v98
	v_mad_u64_u32 v[15:16], s[2:3], s13, v15, v[9:10]
	v_add_u32_e32 v16, 0x690, v14
	v_mad_u64_u32 v[23:24], s[2:3], s12, v16, 0
	v_add_co_u32_e32 v6, vcc, v4, v6
	v_addc_co_u32_e32 v7, vcc, v5, v7, vcc
	v_mov_b32_e32 v9, v15
	global_store_dword v[6:7], v26, off
	v_lshlrev_b64 v[6:7], 2, v[8:9]
	v_mov_b32_e32 v8, v24
	v_mad_u64_u32 v[8:9], s[2:3], s13, v16, v[8:9]
	v_add_co_u32_e32 v6, vcc, v4, v6
	v_addc_co_u32_e32 v7, vcc, v5, v7, vcc
	v_pack_b32_f16 v9, v103, v100
	v_add_u32_e32 v15, 0xa8, v14
	global_store_dword v[6:7], v9, off
	v_mov_b32_e32 v24, v8
	v_mad_u64_u32 v[8:9], s[2:3], s12, v15, 0
	v_lshlrev_b64 v[6:7], 2, v[23:24]
	v_mad_u64_u32 v[23:24], s[2:3], s12, v21, 0
	v_mad_u64_u32 v[15:16], s[2:3], s13, v15, v[9:10]
	v_add_co_u32_e32 v6, vcc, v4, v6
	v_addc_co_u32_e32 v7, vcc, v5, v7, vcc
	v_pack_b32_f16 v26, v91, v76
	v_mov_b32_e32 v9, v15
	global_store_dword v[6:7], v26, off
	v_lshlrev_b64 v[6:7], 2, v[8:9]
	v_mov_b32_e32 v8, v24
	v_mad_u64_u32 v[8:9], s[2:3], s13, v21, v[8:9]
	v_add_co_u32_e32 v6, vcc, v4, v6
	v_addc_co_u32_e32 v7, vcc, v5, v7, vcc
	v_pack_b32_f16 v9, v45, v71
	global_store_dword v[6:7], v9, off
	v_mov_b32_e32 v24, v8
	v_mad_u64_u32 v[8:9], s[2:3], s12, v25, 0
	v_lshlrev_b64 v[6:7], 2, v[23:24]
	v_pack_b32_f16 v21, v70, v69
	v_mad_u64_u32 v[15:16], s[2:3], s13, v25, v[9:10]
	v_or_b32_e32 v16, 0x540, v14
	v_mad_u64_u32 v[23:24], s[2:3], s12, v16, 0
	v_add_co_u32_e32 v6, vcc, v4, v6
	v_addc_co_u32_e32 v7, vcc, v5, v7, vcc
	v_mov_b32_e32 v9, v15
	global_store_dword v[6:7], v21, off
	v_lshlrev_b64 v[6:7], 2, v[8:9]
	v_mov_b32_e32 v8, v24
	v_mad_u64_u32 v[8:9], s[2:3], s13, v16, v[8:9]
	v_add_co_u32_e32 v6, vcc, v4, v6
	v_addc_co_u32_e32 v7, vcc, v5, v7, vcc
	v_pack_b32_f16 v9, v68, v56
	v_mov_b32_e32 v24, v8
	global_store_dword v[6:7], v9, off
	v_lshlrev_b64 v[6:7], 2, v[23:24]
	v_add_u32_e32 v15, 0x6c8, v14
	v_add_u32_e32 v23, 0xe0, v14
	s_mov_b32 s1, 0x5397829d
	v_mad_u64_u32 v[8:9], s[2:3], s12, v15, 0
	v_mul_hi_u32 v24, v23, s1
	s_movk_i32 s0, 0x620
	v_mad_u64_u32 v[15:16], s[2:3], s13, v15, v[9:10]
	v_lshrrev_b32_e32 v9, 7, v24
	v_mad_u32_u24 v25, v9, s0, v23
	v_mad_u64_u32 v[23:24], s[2:3], s12, v25, 0
	v_add_co_u32_e32 v6, vcc, v4, v6
	v_addc_co_u32_e32 v7, vcc, v5, v7, vcc
	v_pack_b32_f16 v21, v53, v52
	v_mov_b32_e32 v9, v15
	global_store_dword v[6:7], v21, off
	v_lshlrev_b64 v[6:7], 2, v[8:9]
	v_mov_b32_e32 v8, v24
	v_mad_u64_u32 v[8:9], s[2:3], s13, v25, v[8:9]
	v_add_co_u32_e32 v6, vcc, v4, v6
	v_addc_co_u32_e32 v7, vcc, v5, v7, vcc
	v_pack_b32_f16 v9, v51, v10
	v_add_u32_e32 v10, 0x188, v25
	global_store_dword v[6:7], v9, off
	v_mov_b32_e32 v24, v8
	v_mad_u64_u32 v[8:9], s[2:3], s12, v10, 0
	v_lshlrev_b64 v[6:7], 2, v[23:24]
	v_pack_b32_f16 v21, v57, v67
	v_mad_u64_u32 v[9:10], s[2:3], s13, v10, v[9:10]
	v_add_u32_e32 v10, 0x310, v25
	v_mad_u64_u32 v[15:16], s[2:3], s12, v10, 0
	v_add_co_u32_e32 v6, vcc, v4, v6
	v_addc_co_u32_e32 v7, vcc, v5, v7, vcc
	global_store_dword v[6:7], v21, off
	v_lshlrev_b64 v[6:7], 2, v[8:9]
	v_mov_b32_e32 v8, v16
	v_mad_u64_u32 v[8:9], s[2:3], s13, v10, v[8:9]
	v_add_co_u32_e32 v6, vcc, v4, v6
	v_addc_co_u32_e32 v7, vcc, v5, v7, vcc
	v_pack_b32_f16 v9, v66, v65
	v_add_u32_e32 v10, 0x498, v25
	global_store_dword v[6:7], v9, off
	v_mov_b32_e32 v16, v8
	v_mad_u64_u32 v[8:9], s[2:3], s12, v10, 0
	v_lshlrev_b64 v[6:7], 2, v[15:16]
	v_pack_b32_f16 v21, v64, v63
	v_mad_u64_u32 v[9:10], s[2:3], s13, v10, v[9:10]
	v_add_u32_e32 v10, 0x620, v25
	v_mad_u64_u32 v[15:16], s[2:3], s12, v10, 0
	v_add_co_u32_e32 v6, vcc, v4, v6
	v_addc_co_u32_e32 v7, vcc, v5, v7, vcc
	global_store_dword v[6:7], v21, off
	v_lshlrev_b64 v[6:7], 2, v[8:9]
	v_mov_b32_e32 v8, v16
	v_mad_u64_u32 v[8:9], s[2:3], s13, v10, v[8:9]
	v_add_co_u32_e32 v6, vcc, v4, v6
	v_addc_co_u32_e32 v7, vcc, v5, v7, vcc
	v_pack_b32_f16 v9, v62, v61
	v_add_u32_e32 v10, 0x118, v14
	global_store_dword v[6:7], v9, off
	v_mov_b32_e32 v16, v8
	v_mad_u64_u32 v[8:9], s[2:3], s12, v10, 0
	v_lshlrev_b64 v[6:7], 2, v[15:16]
	v_mad_u64_u32 v[15:16], s[2:3], s12, v17, 0
	v_mad_u64_u32 v[9:10], s[2:3], s13, v10, v[9:10]
	v_add_co_u32_e32 v6, vcc, v4, v6
	v_addc_co_u32_e32 v7, vcc, v5, v7, vcc
	v_pack_b32_f16 v21, v60, v59
	global_store_dword v[6:7], v21, off
	v_lshlrev_b64 v[6:7], 2, v[8:9]
	v_mov_b32_e32 v8, v16
	v_mad_u64_u32 v[8:9], s[2:3], s13, v17, v[8:9]
	v_add_co_u32_e32 v6, vcc, v4, v6
	v_addc_co_u32_e32 v7, vcc, v5, v7, vcc
	v_pack_b32_f16 v9, v11, v58
	v_add_u32_e32 v10, 0x428, v14
	global_store_dword v[6:7], v9, off
	v_mov_b32_e32 v16, v8
	v_mad_u64_u32 v[8:9], s[2:3], s12, v10, 0
	v_lshlrev_b64 v[6:7], 2, v[15:16]
	v_add_u32_e32 v16, 0x5b0, v14
	v_mad_u64_u32 v[9:10], s[2:3], s13, v10, v[9:10]
	v_mad_u64_u32 v[10:11], s[2:3], s12, v16, 0
	v_add_co_u32_e32 v6, vcc, v4, v6
	v_addc_co_u32_e32 v7, vcc, v5, v7, vcc
	v_pack_b32_f16 v15, v55, v54
	global_store_dword v[6:7], v15, off
	v_lshlrev_b64 v[6:7], 2, v[8:9]
	v_mov_b32_e32 v8, v11
	v_mad_u64_u32 v[8:9], s[2:3], s13, v16, v[8:9]
	v_add_co_u32_e32 v6, vcc, v4, v6
	v_addc_co_u32_e32 v7, vcc, v5, v7, vcc
	v_pack_b32_f16 v9, v50, v49
	v_mov_b32_e32 v11, v8
	global_store_dword v[6:7], v9, off
	v_lshlrev_b64 v[6:7], 2, v[10:11]
	v_add_u32_e32 v10, 0x738, v14
	v_mad_u64_u32 v[8:9], s[2:3], s12, v10, 0
	v_add_u32_e32 v11, 0x150, v14
	v_mul_hi_u32 v14, v11, s1
	v_mad_u64_u32 v[9:10], s[2:3], s13, v10, v[9:10]
	v_add_co_u32_e32 v6, vcc, v4, v6
	v_lshrrev_b32_e32 v10, 7, v14
	v_mad_u32_u24 v14, v10, s0, v11
	v_mad_u64_u32 v[10:11], s[0:1], s12, v14, 0
	v_addc_co_u32_e32 v7, vcc, v5, v7, vcc
	v_pack_b32_f16 v15, v48, v47
	global_store_dword v[6:7], v15, off
	v_lshlrev_b64 v[6:7], 2, v[8:9]
	v_mov_b32_e32 v8, v11
	v_mad_u64_u32 v[8:9], s[0:1], s13, v14, v[8:9]
	v_add_co_u32_e32 v6, vcc, v4, v6
	v_addc_co_u32_e32 v7, vcc, v5, v7, vcc
	v_pack_b32_f16 v9, v29, v12
	v_mov_b32_e32 v11, v8
	global_store_dword v[6:7], v9, off
	v_lshlrev_b64 v[6:7], 2, v[10:11]
	v_add_u32_e32 v10, 0x188, v14
	v_mad_u64_u32 v[8:9], s[0:1], s12, v10, 0
	v_add_u32_e32 v15, 0x310, v14
	v_add_co_u32_e32 v6, vcc, v4, v6
	v_mad_u64_u32 v[9:10], s[0:1], s13, v10, v[9:10]
	v_mad_u64_u32 v[10:11], s[0:1], s12, v15, 0
	v_addc_co_u32_e32 v7, vcc, v5, v7, vcc
	v_pack_b32_f16 v12, v28, v22
	global_store_dword v[6:7], v12, off
	v_lshlrev_b64 v[6:7], 2, v[8:9]
	v_mov_b32_e32 v8, v11
	v_mad_u64_u32 v[8:9], s[0:1], s13, v15, v[8:9]
	v_add_co_u32_e32 v6, vcc, v4, v6
	v_addc_co_u32_e32 v7, vcc, v5, v7, vcc
	v_pack_b32_f16 v9, v20, v19
	v_mov_b32_e32 v11, v8
	global_store_dword v[6:7], v9, off
	v_lshlrev_b64 v[6:7], 2, v[10:11]
	v_add_u32_e32 v10, 0x498, v14
	v_mad_u64_u32 v[8:9], s[0:1], s12, v10, 0
	v_pack_b32_f16 v12, v18, v13
	v_add_u32_e32 v13, 0x620, v14
	v_mad_u64_u32 v[9:10], s[0:1], s13, v10, v[9:10]
	v_mad_u64_u32 v[10:11], s[0:1], s12, v13, 0
	v_add_co_u32_e32 v6, vcc, v4, v6
	v_addc_co_u32_e32 v7, vcc, v5, v7, vcc
	global_store_dword v[6:7], v12, off
	v_lshlrev_b64 v[6:7], 2, v[8:9]
	v_mov_b32_e32 v8, v11
	v_mad_u64_u32 v[8:9], s[0:1], s13, v13, v[8:9]
	v_add_co_u32_e32 v6, vcc, v4, v6
	v_addc_co_u32_e32 v7, vcc, v5, v7, vcc
	v_pack_b32_f16 v2, v3, v2
	v_mov_b32_e32 v11, v8
	global_store_dword v[6:7], v2, off
	v_lshlrev_b64 v[2:3], 2, v[10:11]
	v_pack_b32_f16 v0, v1, v0
	v_add_co_u32_e32 v2, vcc, v4, v2
	v_addc_co_u32_e32 v3, vcc, v5, v3, vcc
	global_store_dword v[2:3], v0, off
.LBB0_29:
	s_endpgm
	.section	.rodata,"a",@progbits
	.p2align	6, 0x0
	.amdhsa_kernel fft_rtc_back_len1960_factors_4_7_2_7_5_wgs_56_tpt_56_halfLds_half_ip_CI_sbrr_dirReg
		.amdhsa_group_segment_fixed_size 0
		.amdhsa_private_segment_fixed_size 0
		.amdhsa_kernarg_size 88
		.amdhsa_user_sgpr_count 6
		.amdhsa_user_sgpr_private_segment_buffer 1
		.amdhsa_user_sgpr_dispatch_ptr 0
		.amdhsa_user_sgpr_queue_ptr 0
		.amdhsa_user_sgpr_kernarg_segment_ptr 1
		.amdhsa_user_sgpr_dispatch_id 0
		.amdhsa_user_sgpr_flat_scratch_init 0
		.amdhsa_user_sgpr_private_segment_size 0
		.amdhsa_uses_dynamic_stack 0
		.amdhsa_system_sgpr_private_segment_wavefront_offset 0
		.amdhsa_system_sgpr_workgroup_id_x 1
		.amdhsa_system_sgpr_workgroup_id_y 0
		.amdhsa_system_sgpr_workgroup_id_z 0
		.amdhsa_system_sgpr_workgroup_info 0
		.amdhsa_system_vgpr_workitem_id 0
		.amdhsa_next_free_vgpr 168
		.amdhsa_next_free_sgpr 24
		.amdhsa_reserve_vcc 1
		.amdhsa_reserve_flat_scratch 0
		.amdhsa_float_round_mode_32 0
		.amdhsa_float_round_mode_16_64 0
		.amdhsa_float_denorm_mode_32 3
		.amdhsa_float_denorm_mode_16_64 3
		.amdhsa_dx10_clamp 1
		.amdhsa_ieee_mode 1
		.amdhsa_fp16_overflow 0
		.amdhsa_exception_fp_ieee_invalid_op 0
		.amdhsa_exception_fp_denorm_src 0
		.amdhsa_exception_fp_ieee_div_zero 0
		.amdhsa_exception_fp_ieee_overflow 0
		.amdhsa_exception_fp_ieee_underflow 0
		.amdhsa_exception_fp_ieee_inexact 0
		.amdhsa_exception_int_div_zero 0
	.end_amdhsa_kernel
	.text
.Lfunc_end0:
	.size	fft_rtc_back_len1960_factors_4_7_2_7_5_wgs_56_tpt_56_halfLds_half_ip_CI_sbrr_dirReg, .Lfunc_end0-fft_rtc_back_len1960_factors_4_7_2_7_5_wgs_56_tpt_56_halfLds_half_ip_CI_sbrr_dirReg
                                        ; -- End function
	.section	.AMDGPU.csdata,"",@progbits
; Kernel info:
; codeLenInByte = 24112
; NumSgprs: 28
; NumVgprs: 168
; ScratchSize: 0
; MemoryBound: 0
; FloatMode: 240
; IeeeMode: 1
; LDSByteSize: 0 bytes/workgroup (compile time only)
; SGPRBlocks: 3
; VGPRBlocks: 41
; NumSGPRsForWavesPerEU: 28
; NumVGPRsForWavesPerEU: 168
; Occupancy: 1
; WaveLimiterHint : 1
; COMPUTE_PGM_RSRC2:SCRATCH_EN: 0
; COMPUTE_PGM_RSRC2:USER_SGPR: 6
; COMPUTE_PGM_RSRC2:TRAP_HANDLER: 0
; COMPUTE_PGM_RSRC2:TGID_X_EN: 1
; COMPUTE_PGM_RSRC2:TGID_Y_EN: 0
; COMPUTE_PGM_RSRC2:TGID_Z_EN: 0
; COMPUTE_PGM_RSRC2:TIDIG_COMP_CNT: 0
	.type	__hip_cuid_5237dd6ac8626231,@object ; @__hip_cuid_5237dd6ac8626231
	.section	.bss,"aw",@nobits
	.globl	__hip_cuid_5237dd6ac8626231
__hip_cuid_5237dd6ac8626231:
	.byte	0                               ; 0x0
	.size	__hip_cuid_5237dd6ac8626231, 1

	.ident	"AMD clang version 19.0.0git (https://github.com/RadeonOpenCompute/llvm-project roc-6.4.0 25133 c7fe45cf4b819c5991fe208aaa96edf142730f1d)"
	.section	".note.GNU-stack","",@progbits
	.addrsig
	.addrsig_sym __hip_cuid_5237dd6ac8626231
	.amdgpu_metadata
---
amdhsa.kernels:
  - .args:
      - .actual_access:  read_only
        .address_space:  global
        .offset:         0
        .size:           8
        .value_kind:     global_buffer
      - .offset:         8
        .size:           8
        .value_kind:     by_value
      - .actual_access:  read_only
        .address_space:  global
        .offset:         16
        .size:           8
        .value_kind:     global_buffer
      - .actual_access:  read_only
        .address_space:  global
        .offset:         24
        .size:           8
        .value_kind:     global_buffer
      - .offset:         32
        .size:           8
        .value_kind:     by_value
      - .actual_access:  read_only
        .address_space:  global
        .offset:         40
        .size:           8
        .value_kind:     global_buffer
      - .actual_access:  read_only
        .address_space:  global
        .offset:         48
        .size:           8
        .value_kind:     global_buffer
      - .offset:         56
        .size:           4
        .value_kind:     by_value
      - .actual_access:  read_only
        .address_space:  global
        .offset:         64
        .size:           8
        .value_kind:     global_buffer
      - .actual_access:  read_only
        .address_space:  global
        .offset:         72
        .size:           8
        .value_kind:     global_buffer
      - .address_space:  global
        .offset:         80
        .size:           8
        .value_kind:     global_buffer
    .group_segment_fixed_size: 0
    .kernarg_segment_align: 8
    .kernarg_segment_size: 88
    .language:       OpenCL C
    .language_version:
      - 2
      - 0
    .max_flat_workgroup_size: 56
    .name:           fft_rtc_back_len1960_factors_4_7_2_7_5_wgs_56_tpt_56_halfLds_half_ip_CI_sbrr_dirReg
    .private_segment_fixed_size: 0
    .sgpr_count:     28
    .sgpr_spill_count: 0
    .symbol:         fft_rtc_back_len1960_factors_4_7_2_7_5_wgs_56_tpt_56_halfLds_half_ip_CI_sbrr_dirReg.kd
    .uniform_work_group_size: 1
    .uses_dynamic_stack: false
    .vgpr_count:     168
    .vgpr_spill_count: 0
    .wavefront_size: 64
amdhsa.target:   amdgcn-amd-amdhsa--gfx906
amdhsa.version:
  - 1
  - 2
...

	.end_amdgpu_metadata
